;; amdgpu-corpus repo=ROCm/rocFFT kind=compiled arch=gfx950 opt=O3
	.text
	.amdgcn_target "amdgcn-amd-amdhsa--gfx950"
	.amdhsa_code_object_version 6
	.protected	fft_rtc_fwd_len208_factors_2_2_4_13_wgs_247_tpt_13_dim3_sp_ip_CI_sbcc_twdbase8_2step_dirReg ; -- Begin function fft_rtc_fwd_len208_factors_2_2_4_13_wgs_247_tpt_13_dim3_sp_ip_CI_sbcc_twdbase8_2step_dirReg
	.globl	fft_rtc_fwd_len208_factors_2_2_4_13_wgs_247_tpt_13_dim3_sp_ip_CI_sbcc_twdbase8_2step_dirReg
	.p2align	8
	.type	fft_rtc_fwd_len208_factors_2_2_4_13_wgs_247_tpt_13_dim3_sp_ip_CI_sbcc_twdbase8_2step_dirReg,@function
fft_rtc_fwd_len208_factors_2_2_4_13_wgs_247_tpt_13_dim3_sp_ip_CI_sbcc_twdbase8_2step_dirReg: ; @fft_rtc_fwd_len208_factors_2_2_4_13_wgs_247_tpt_13_dim3_sp_ip_CI_sbcc_twdbase8_2step_dirReg
; %bb.0:
	s_load_dwordx4 s[4:7], s[0:1], 0x10
	s_mov_b32 s3, 0
	s_mov_b64 s[20:21], 0
	s_waitcnt lgkmcnt(0)
	s_load_dwordx2 s[10:11], s[4:5], 0x8
	s_waitcnt lgkmcnt(0)
	s_add_u32 s8, s10, -1
	s_addc_u32 s9, s11, -1
	s_add_u32 s12, 0, 0x50d6f500
	s_addc_u32 s13, 0, 46
	s_mul_hi_u32 s15, s12, 0xffffffed
	s_add_i32 s13, s13, 0xd794330
	s_sub_i32 s15, s15, s12
	s_mul_i32 s18, s13, 0xffffffed
	s_mul_i32 s14, s12, 0xffffffed
	s_add_i32 s15, s15, s18
	s_mul_hi_u32 s16, s13, s14
	s_mul_i32 s17, s13, s14
	s_mul_i32 s19, s12, s15
	s_mul_hi_u32 s14, s12, s14
	s_mul_hi_u32 s18, s12, s15
	s_add_u32 s14, s14, s19
	s_addc_u32 s18, 0, s18
	s_add_u32 s14, s14, s17
	s_mul_hi_u32 s19, s13, s15
	s_addc_u32 s14, s18, s16
	s_addc_u32 s16, s19, 0
	s_mul_i32 s15, s13, s15
	s_add_u32 s14, s14, s15
	v_mov_b32_e32 v1, s14
	s_addc_u32 s15, 0, s16
	v_add_co_u32_e32 v1, vcc, s12, v1
	s_cmp_lg_u64 vcc, 0
	s_addc_u32 s12, s13, s15
	v_readfirstlane_b32 s15, v1
	s_mul_i32 s14, s8, s12
	s_mul_hi_u32 s16, s8, s15
	s_mul_hi_u32 s13, s8, s12
	s_add_u32 s14, s16, s14
	s_addc_u32 s13, 0, s13
	s_mul_hi_u32 s17, s9, s15
	s_mul_i32 s15, s9, s15
	s_add_u32 s14, s14, s15
	s_mul_hi_u32 s16, s9, s12
	s_addc_u32 s13, s13, s17
	s_addc_u32 s14, s16, 0
	s_mul_i32 s12, s9, s12
	s_add_u32 s12, s13, s12
	s_addc_u32 s13, 0, s14
	s_add_u32 s14, s12, 1
	s_addc_u32 s15, s13, 0
	s_add_u32 s16, s12, 2
	s_mul_i32 s18, s13, 19
	s_mul_hi_u32 s19, s12, 19
	s_addc_u32 s17, s13, 0
	s_add_i32 s19, s19, s18
	s_mul_i32 s18, s12, 19
	v_mov_b32_e32 v1, s18
	v_sub_co_u32_e32 v1, vcc, s8, v1
	s_cmp_lg_u64 vcc, 0
	s_subb_u32 s8, s9, s19
	v_subrev_co_u32_e32 v2, vcc, 19, v1
	s_cmp_lg_u64 vcc, 0
	s_subb_u32 s9, s8, 0
	v_readfirstlane_b32 s18, v2
	s_cmp_gt_u32 s18, 18
	s_cselect_b32 s18, -1, 0
	s_cmp_eq_u32 s9, 0
	s_cselect_b32 s9, s18, -1
	s_cmp_lg_u32 s9, 0
	s_cselect_b32 s9, s16, s14
	s_cselect_b32 s14, s17, s15
	v_readfirstlane_b32 s15, v1
	s_cmp_gt_u32 s15, 18
	s_cselect_b32 s15, -1, 0
	s_cmp_eq_u32 s8, 0
	s_cselect_b32 s8, s15, -1
	s_cmp_lg_u32 s8, 0
	s_cselect_b32 s9, s9, s12
	s_cselect_b32 s8, s14, s13
	s_add_u32 s18, s9, 1
	s_addc_u32 s19, s8, 0
	v_mov_b64_e32 v[2:3], s[18:19]
	v_cmp_lt_u64_e32 vcc, s[2:3], v[2:3]
	s_cbranch_vccnz .LBB0_2
; %bb.1:
	v_cvt_f32_u32_e32 v1, s18
	s_sub_i32 s8, 0, s18
	s_mov_b32 s21, s3
	v_rcp_iflag_f32_e32 v1, v1
	s_nop 0
	v_mul_f32_e32 v1, 0x4f7ffffe, v1
	v_cvt_u32_f32_e32 v1, v1
	s_nop 0
	v_readfirstlane_b32 s9, v1
	s_mul_i32 s8, s8, s9
	s_mul_hi_u32 s8, s9, s8
	s_add_i32 s9, s9, s8
	s_mul_hi_u32 s8, s2, s9
	s_mul_i32 s12, s8, s18
	s_sub_i32 s12, s2, s12
	s_add_i32 s9, s8, 1
	s_sub_i32 s13, s12, s18
	s_cmp_ge_u32 s12, s18
	s_cselect_b32 s8, s9, s8
	s_cselect_b32 s12, s13, s12
	s_add_i32 s9, s8, 1
	s_cmp_ge_u32 s12, s18
	s_cselect_b32 s20, s9, s8
.LBB0_2:
	s_load_dwordx2 s[8:9], s[4:5], 0x10
	s_load_dwordx2 s[12:13], s[6:7], 0x8
	s_mov_b64 s[4:5], s[20:21]
	s_waitcnt lgkmcnt(0)
	v_mov_b64_e32 v[2:3], s[8:9]
	v_cmp_lt_u64_e32 vcc, s[20:21], v[2:3]
	s_cbranch_vccnz .LBB0_4
; %bb.3:
	v_cvt_f32_u32_e32 v1, s8
	s_sub_i32 s4, 0, s8
	v_rcp_iflag_f32_e32 v1, v1
	s_nop 0
	v_mul_f32_e32 v1, 0x4f7ffffe, v1
	v_cvt_u32_f32_e32 v1, v1
	s_nop 0
	v_readfirstlane_b32 s5, v1
	s_mul_i32 s4, s4, s5
	s_mul_hi_u32 s4, s5, s4
	s_add_i32 s5, s5, s4
	s_mul_hi_u32 s4, s20, s5
	s_mul_i32 s4, s4, s8
	s_sub_i32 s4, s20, s4
	s_sub_i32 s5, s4, s8
	s_cmp_ge_u32 s4, s8
	s_cselect_b32 s4, s5, s4
	s_sub_i32 s5, s4, s8
	s_cmp_ge_u32 s4, s8
	s_cselect_b32 s4, s5, s4
.LBB0_4:
	s_mul_i32 s5, s8, s19
	s_mul_hi_u32 s16, s8, s18
	s_add_i32 s5, s16, s5
	s_mul_i32 s9, s9, s18
	s_load_dwordx2 s[14:15], s[0:1], 0x50
	s_add_i32 s17, s5, s9
	s_mul_i32 s16, s8, s18
	s_load_dwordx2 s[8:9], s[6:7], 0x0
	s_load_dwordx2 s[22:23], s[6:7], 0x10
	v_mov_b64_e32 v[2:3], s[16:17]
	v_cmp_lt_u64_e32 vcc, s[2:3], v[2:3]
	s_mov_b64 s[24:25], 0
	s_cbranch_vccnz .LBB0_6
; %bb.5:
	v_cvt_f32_u32_e32 v1, s16
	s_sub_i32 s3, 0, s16
	v_rcp_iflag_f32_e32 v1, v1
	s_nop 0
	v_mul_f32_e32 v1, 0x4f7ffffe, v1
	v_cvt_u32_f32_e32 v1, v1
	s_nop 0
	v_readfirstlane_b32 s5, v1
	s_mul_i32 s3, s3, s5
	s_mul_hi_u32 s3, s5, s3
	s_add_i32 s5, s5, s3
	s_mul_hi_u32 s3, s2, s5
	s_mul_i32 s17, s3, s16
	s_sub_i32 s17, s2, s17
	s_add_i32 s5, s3, 1
	s_sub_i32 s21, s17, s16
	s_cmp_ge_u32 s17, s16
	s_cselect_b32 s3, s5, s3
	s_cselect_b32 s17, s21, s17
	s_add_i32 s5, s3, 1
	s_cmp_ge_u32 s17, s16
	s_cselect_b32 s24, s5, s3
.LBB0_6:
	s_mul_i32 s3, s20, s19
	s_mul_hi_u32 s5, s20, s18
	s_add_i32 s5, s5, s3
	s_mul_i32 s3, s20, s18
	s_sub_u32 s18, s2, s3
	s_subb_u32 s2, 0, s5
	s_mul_i32 s5, s2, 19
	s_mul_hi_u32 s2, s18, 19
	s_add_i32 s19, s2, s5
	s_mul_i32 s20, s18, 19
	s_mul_i32 s2, s12, s19
	s_mul_hi_u32 s3, s12, s20
	s_add_i32 s2, s3, s2
	s_mul_i32 s3, s13, s20
	s_add_i32 s21, s2, s3
	s_load_dwordx2 s[2:3], s[6:7], 0x18
	s_waitcnt lgkmcnt(0)
	s_mul_i32 s23, s23, s4
	s_mul_hi_u32 s26, s22, s4
	s_mul_i32 s25, s12, s20
	s_add_i32 s26, s26, s23
	s_mul_i32 s4, s22, s4
	v_mul_u32_u24_e32 v1, 0xd7a, v0
	s_add_u32 s4, s4, s25
	s_mul_i32 s3, s3, s24
	s_mul_hi_u32 s6, s2, s24
	v_lshrrev_b32_e32 v146, 16, v1
	s_addc_u32 s7, s26, s21
	s_add_i32 s3, s6, s3
	s_mul_i32 s2, s2, s24
	v_mul_lo_u16_e32 v1, 19, v146
	s_add_u32 s6, s2, s4
	v_sub_u16_e32 v24, v0, v1
	v_mov_b32_e32 v25, 0
	s_load_dwordx2 s[16:17], s[0:1], 0x0
	s_addc_u32 s7, s3, s7
	v_mad_u64_u32 v[26:27], s[2:3], s18, 19, v[24:25]
	s_add_u32 s2, s20, 19
	s_addc_u32 s3, s19, 0
	v_mov_b64_e32 v[2:3], s[10:11]
	v_cmp_gt_u64_e32 vcc, s[2:3], v[2:3]
	v_add_u32_e32 v27, s5, v27
	v_cmp_le_u64_e64 s[4:5], s[2:3], v[2:3]
	s_and_b64 vcc, exec, vcc
	v_add_u32_e32 v42, 13, v146
	v_add_u32_e32 v43, 26, v146
	;; [unrolled: 1-line block ×4, first 2 shown]
	s_cbranch_vccnz .LBB0_8
; %bb.7:
	v_mad_u64_u32 v[2:3], s[2:3], s12, v24, 0
	v_mov_b32_e32 v4, v3
	v_mad_u64_u32 v[4:5], s[2:3], s13, v24, v[4:5]
	v_mov_b32_e32 v3, v4
	;; [unrolled: 2-line block ×3, first 2 shown]
	v_mad_u64_u32 v[6:7], s[2:3], s9, v146, v[6:7]
	s_lshl_b64 s[2:3], s[6:7], 3
	s_add_u32 s2, s14, s2
	s_addc_u32 s3, s15, s3
	v_add_u32_e32 v1, 0x68, v146
	v_mov_b32_e32 v5, v6
	v_lshl_add_u64 v[30:31], v[2:3], 3, s[2:3]
	v_mad_u64_u32 v[2:3], s[2:3], s8, v1, 0
	v_lshl_add_u64 v[10:11], v[4:5], 3, v[30:31]
	v_mov_b32_e32 v4, v3
	v_mad_u64_u32 v[4:5], s[2:3], s9, v1, v[4:5]
	v_mov_b32_e32 v3, v4
	v_add_u32_e32 v147, 13, v146
	v_lshl_add_u64 v[12:13], v[2:3], 3, v[30:31]
	v_mad_u64_u32 v[2:3], s[2:3], s8, v147, 0
	v_mov_b32_e32 v4, v3
	v_mad_u64_u32 v[4:5], s[2:3], s9, v147, v[4:5]
	v_mov_b32_e32 v3, v4
	v_add_u32_e32 v1, 0x75, v146
	v_lshl_add_u64 v[14:15], v[2:3], 3, v[30:31]
	v_mad_u64_u32 v[2:3], s[2:3], s8, v1, 0
	v_mov_b32_e32 v4, v3
	v_mad_u64_u32 v[4:5], s[2:3], s9, v1, v[4:5]
	v_mov_b32_e32 v3, v4
	v_add_u32_e32 v1, 26, v146
	v_lshl_add_u64 v[16:17], v[2:3], 3, v[30:31]
	global_load_dwordx2 v[2:3], v[10:11], off
	global_load_dwordx2 v[6:7], v[12:13], off
	global_load_dwordx2 v[4:5], v[14:15], off
	global_load_dwordx2 v[8:9], v[16:17], off
	v_mad_u64_u32 v[10:11], s[2:3], s8, v1, 0
	v_mov_b32_e32 v12, v11
	v_mad_u64_u32 v[12:13], s[2:3], s9, v1, v[12:13]
	v_mov_b32_e32 v11, v12
	v_add_u32_e32 v13, 0x82, v146
	v_lshl_add_u64 v[18:19], v[10:11], 3, v[30:31]
	v_mad_u64_u32 v[10:11], s[2:3], s8, v13, 0
	v_mov_b32_e32 v12, v11
	v_mad_u64_u32 v[12:13], s[2:3], s9, v13, v[12:13]
	v_mov_b32_e32 v11, v12
	v_add_u32_e32 v25, 39, v146
	v_lshl_add_u64 v[20:21], v[10:11], 3, v[30:31]
	v_mad_u64_u32 v[10:11], s[2:3], s8, v25, 0
	v_mov_b32_e32 v12, v11
	v_mad_u64_u32 v[12:13], s[2:3], s9, v25, v[12:13]
	v_mov_b32_e32 v11, v12
	v_add_u32_e32 v13, 0x8f, v146
	v_lshl_add_u64 v[22:23], v[10:11], 3, v[30:31]
	v_mad_u64_u32 v[10:11], s[2:3], s8, v13, 0
	v_mov_b32_e32 v12, v11
	v_mad_u64_u32 v[12:13], s[2:3], s9, v13, v[12:13]
	v_mov_b32_e32 v11, v12
	v_add_u32_e32 v41, 52, v146
	v_lshl_add_u64 v[28:29], v[10:11], 3, v[30:31]
	global_load_dwordx2 v[10:11], v[18:19], off
	global_load_dwordx2 v[14:15], v[20:21], off
	global_load_dwordx2 v[12:13], v[22:23], off
	global_load_dwordx2 v[16:17], v[28:29], off
	v_mad_u64_u32 v[18:19], s[2:3], s8, v41, 0
	v_mov_b32_e32 v20, v19
	v_mad_u64_u32 v[20:21], s[2:3], s9, v41, v[20:21]
	v_mov_b32_e32 v19, v20
	v_add_u32_e32 v21, 0x9c, v146
	v_lshl_add_u64 v[32:33], v[18:19], 3, v[30:31]
	v_mad_u64_u32 v[18:19], s[2:3], s8, v21, 0
	;; [unrolled: 28-line block ×3, first 2 shown]
	v_mov_b32_e32 v34, v33
	v_mad_u64_u32 v[34:35], s[2:3], s9, v35, v[34:35]
	v_mov_b32_e32 v33, v34
	v_add_u32_e32 v40, 0x5b, v146
	v_lshl_add_u64 v[48:49], v[32:33], 3, v[30:31]
	v_mad_u64_u32 v[32:33], s[2:3], s8, v40, 0
	v_mov_b32_e32 v34, v33
	v_mad_u64_u32 v[34:35], s[2:3], s9, v40, v[34:35]
	v_mov_b32_e32 v33, v34
	v_add_u32_e32 v35, 0xc3, v146
	v_lshl_add_u64 v[50:51], v[32:33], 3, v[30:31]
	v_mad_u64_u32 v[32:33], s[2:3], s8, v35, 0
	v_mov_b32_e32 v34, v33
	v_mad_u64_u32 v[34:35], s[2:3], s9, v35, v[34:35]
	v_mov_b32_e32 v33, v34
	v_lshl_add_u64 v[52:53], v[32:33], 3, v[30:31]
	global_load_dwordx2 v[30:31], v[46:47], off
	global_load_dwordx2 v[34:35], v[48:49], off
	;; [unrolled: 1-line block ×4, first 2 shown]
	s_cbranch_execz .LBB0_9
	s_branch .LBB0_14
.LBB0_8:
                                        ; implicit-def: $vgpr7
                                        ; implicit-def: $vgpr3
                                        ; implicit-def: $vgpr9
                                        ; implicit-def: $vgpr5
                                        ; implicit-def: $vgpr15
                                        ; implicit-def: $vgpr11
                                        ; implicit-def: $vgpr17
                                        ; implicit-def: $vgpr13
                                        ; implicit-def: $vgpr23
                                        ; implicit-def: $vgpr19
                                        ; implicit-def: $vgpr29
                                        ; implicit-def: $vgpr21
                                        ; implicit-def: $vgpr35
                                        ; implicit-def: $vgpr31
                                        ; implicit-def: $vgpr37
                                        ; implicit-def: $vgpr33
                                        ; implicit-def: $vgpr147
                                        ; implicit-def: $vgpr1
                                        ; implicit-def: $vgpr25
                                        ; implicit-def: $vgpr41
                                        ; implicit-def: $vgpr38
                                        ; implicit-def: $vgpr39
                                        ; implicit-def: $vgpr40
.LBB0_9:
	v_cmp_le_u64_e32 vcc, s[10:11], v[26:27]
                                        ; implicit-def: $vgpr147
                                        ; implicit-def: $vgpr1
                                        ; implicit-def: $vgpr25
                                        ; implicit-def: $vgpr41
                                        ; implicit-def: $vgpr38
                                        ; implicit-def: $vgpr39
                                        ; implicit-def: $vgpr40
	s_and_saveexec_b64 s[2:3], vcc
	s_xor_b64 s[2:3], exec, s[2:3]
; %bb.10:
	v_add_u32_e32 v147, 13, v146
	v_add_u32_e32 v1, 26, v146
	;; [unrolled: 1-line block ×7, first 2 shown]
                                        ; implicit-def: $vgpr42
                                        ; implicit-def: $vgpr43
                                        ; implicit-def: $vgpr44
                                        ; implicit-def: $vgpr45
; %bb.11:
	s_or_saveexec_b64 s[2:3], s[2:3]
                                        ; implicit-def: $vgpr7
                                        ; implicit-def: $vgpr3
                                        ; implicit-def: $vgpr9
                                        ; implicit-def: $vgpr5
                                        ; implicit-def: $vgpr15
                                        ; implicit-def: $vgpr11
                                        ; implicit-def: $vgpr17
                                        ; implicit-def: $vgpr13
                                        ; implicit-def: $vgpr23
                                        ; implicit-def: $vgpr19
                                        ; implicit-def: $vgpr29
                                        ; implicit-def: $vgpr21
                                        ; implicit-def: $vgpr35
                                        ; implicit-def: $vgpr31
                                        ; implicit-def: $vgpr37
                                        ; implicit-def: $vgpr33
	s_xor_b64 exec, exec, s[2:3]
	s_cbranch_execz .LBB0_13
; %bb.12:
	s_waitcnt vmcnt(15)
	v_mad_u64_u32 v[2:3], s[18:19], s12, v24, 0
	s_waitcnt vmcnt(13)
	v_mov_b32_e32 v4, v3
	v_mad_u64_u32 v[4:5], s[18:19], s13, v24, v[4:5]
	v_mov_b32_e32 v3, v4
	v_mad_u64_u32 v[4:5], s[18:19], s8, v146, 0
	;; [unrolled: 2-line block ×3, first 2 shown]
	s_lshl_b64 s[18:19], s[6:7], 3
	s_add_u32 s18, s14, s18
	s_addc_u32 s19, s15, s19
	v_add_u32_e32 v1, 0x68, v146
	v_mov_b32_e32 v5, v6
	s_waitcnt vmcnt(3)
	v_lshl_add_u64 v[30:31], v[2:3], 3, s[18:19]
	v_mad_u64_u32 v[2:3], s[18:19], s8, v1, 0
	v_lshl_add_u64 v[10:11], v[4:5], 3, v[30:31]
	v_mov_b32_e32 v4, v3
	v_mad_u64_u32 v[4:5], s[18:19], s9, v1, v[4:5]
	v_mov_b32_e32 v3, v4
	v_lshl_add_u64 v[12:13], v[2:3], 3, v[30:31]
	v_mad_u64_u32 v[2:3], s[18:19], s8, v42, 0
	v_mov_b32_e32 v4, v3
	v_mad_u64_u32 v[4:5], s[18:19], s9, v42, v[4:5]
	v_mov_b32_e32 v3, v4
	v_add_u32_e32 v1, 0x75, v146
	v_lshl_add_u64 v[14:15], v[2:3], 3, v[30:31]
	v_mad_u64_u32 v[2:3], s[18:19], s8, v1, 0
	v_mov_b32_e32 v4, v3
	v_mad_u64_u32 v[4:5], s[18:19], s9, v1, v[4:5]
	v_mov_b32_e32 v3, v4
	v_lshl_add_u64 v[16:17], v[2:3], 3, v[30:31]
	global_load_dwordx2 v[2:3], v[10:11], off
	global_load_dwordx2 v[6:7], v[12:13], off
	;; [unrolled: 1-line block ×4, first 2 shown]
	v_mad_u64_u32 v[10:11], s[18:19], s8, v43, 0
	v_mov_b32_e32 v12, v11
	v_mad_u64_u32 v[12:13], s[18:19], s9, v43, v[12:13]
	v_mov_b32_e32 v11, v12
	v_add_u32_e32 v1, 0x82, v146
	v_lshl_add_u64 v[18:19], v[10:11], 3, v[30:31]
	v_mad_u64_u32 v[10:11], s[18:19], s8, v1, 0
	v_mov_b32_e32 v12, v11
	v_mad_u64_u32 v[12:13], s[18:19], s9, v1, v[12:13]
	v_mov_b32_e32 v11, v12
	v_lshl_add_u64 v[20:21], v[10:11], 3, v[30:31]
	v_mad_u64_u32 v[10:11], s[18:19], s8, v44, 0
	v_mov_b32_e32 v12, v11
	v_mad_u64_u32 v[12:13], s[18:19], s9, v44, v[12:13]
	v_mov_b32_e32 v11, v12
	v_add_u32_e32 v1, 0x8f, v146
	v_lshl_add_u64 v[22:23], v[10:11], 3, v[30:31]
	v_mad_u64_u32 v[10:11], s[18:19], s8, v1, 0
	v_mov_b32_e32 v12, v11
	v_mad_u64_u32 v[12:13], s[18:19], s9, v1, v[12:13]
	v_mov_b32_e32 v11, v12
	v_lshl_add_u64 v[28:29], v[10:11], 3, v[30:31]
	global_load_dwordx2 v[10:11], v[18:19], off
	global_load_dwordx2 v[14:15], v[20:21], off
	;; [unrolled: 1-line block ×4, first 2 shown]
	v_mad_u64_u32 v[18:19], s[18:19], s8, v45, 0
	v_mov_b32_e32 v20, v19
	v_mad_u64_u32 v[20:21], s[18:19], s9, v45, v[20:21]
	v_mov_b32_e32 v19, v20
	v_add_u32_e32 v1, 0x9c, v146
	s_waitcnt vmcnt(9)
	v_lshl_add_u64 v[32:33], v[18:19], 3, v[30:31]
	v_mad_u64_u32 v[18:19], s[18:19], s8, v1, 0
	v_mov_b32_e32 v20, v19
	v_mad_u64_u32 v[20:21], s[18:19], s9, v1, v[20:21]
	v_mov_b32_e32 v19, v20
	v_add_u32_e32 v38, 0x41, v146
	v_lshl_add_u64 v[34:35], v[18:19], 3, v[30:31]
	v_mad_u64_u32 v[18:19], s[18:19], s8, v38, 0
	v_mov_b32_e32 v20, v19
	v_mad_u64_u32 v[20:21], s[18:19], s9, v38, v[20:21]
	v_mov_b32_e32 v19, v20
	v_add_u32_e32 v1, 0xa9, v146
	s_waitcnt vmcnt(8)
	v_lshl_add_u64 v[36:37], v[18:19], 3, v[30:31]
	v_mad_u64_u32 v[18:19], s[18:19], s8, v1, 0
	v_mov_b32_e32 v20, v19
	v_mad_u64_u32 v[20:21], s[18:19], s9, v1, v[20:21]
	v_mov_b32_e32 v19, v20
	v_add_u32_e32 v39, 0x4e, v146
	v_lshl_add_u64 v[40:41], v[18:19], 3, v[30:31]
	global_load_dwordx2 v[18:19], v[32:33], off
	global_load_dwordx2 v[22:23], v[34:35], off
	;; [unrolled: 1-line block ×4, first 2 shown]
	v_mad_u64_u32 v[32:33], s[18:19], s8, v39, 0
	v_mov_b32_e32 v34, v33
	v_mad_u64_u32 v[34:35], s[18:19], s9, v39, v[34:35]
	v_mov_b32_e32 v33, v34
	v_add_u32_e32 v1, 0xb6, v146
	v_lshl_add_u64 v[46:47], v[32:33], 3, v[30:31]
	v_mad_u64_u32 v[32:33], s[18:19], s8, v1, 0
	v_mov_b32_e32 v34, v33
	v_mad_u64_u32 v[34:35], s[18:19], s9, v1, v[34:35]
	v_mov_b32_e32 v33, v34
	v_add_u32_e32 v40, 0x5b, v146
	v_lshl_add_u64 v[48:49], v[32:33], 3, v[30:31]
	;; [unrolled: 6-line block ×3, first 2 shown]
	v_mad_u64_u32 v[32:33], s[18:19], s8, v1, 0
	v_mov_b32_e32 v34, v33
	v_mad_u64_u32 v[34:35], s[18:19], s9, v1, v[34:35]
	v_mov_b32_e32 v33, v34
	v_lshl_add_u64 v[52:53], v[32:33], 3, v[30:31]
	global_load_dwordx2 v[30:31], v[46:47], off
	global_load_dwordx2 v[34:35], v[48:49], off
	;; [unrolled: 1-line block ×4, first 2 shown]
	v_mov_b32_e32 v147, v42
	v_mov_b32_e32 v1, v43
	;; [unrolled: 1-line block ×4, first 2 shown]
.LBB0_13:
	s_or_b64 exec, exec, s[2:3]
.LBB0_14:
	s_waitcnt vmcnt(14)
	v_pk_add_f32 v[42:43], v[2:3], v[6:7] neg_lo:[0,1] neg_hi:[0,1]
	v_mul_u32_u24_e32 v7, 0x130, v146
	v_lshlrev_b32_e32 v6, 3, v24
	v_add3_u32 v7, 0, v7, v6
	v_pk_fma_f32 v[2:3], v[2:3], 2.0, v[42:43] op_sel_hi:[1,0,1] neg_lo:[0,0,1] neg_hi:[0,0,1]
	s_waitcnt vmcnt(12)
	v_pk_add_f32 v[8:9], v[4:5], v[8:9] neg_lo:[0,1] neg_hi:[0,1]
	ds_write2_b64 v7, v[2:3], v[42:43] offset1:19
	v_mul_i32_i24_e32 v2, 0x130, v147
	v_add3_u32 v7, 0, v2, v6
	v_pk_fma_f32 v[2:3], v[4:5], 2.0, v[8:9] op_sel_hi:[1,0,1] neg_lo:[0,0,1] neg_hi:[0,0,1]
	s_waitcnt vmcnt(10)
	v_pk_add_f32 v[14:15], v[10:11], v[14:15] neg_lo:[0,1] neg_hi:[0,1]
	ds_write2_b64 v7, v[2:3], v[8:9] offset1:19
	v_mul_i32_i24_e32 v2, 0x130, v1
	;; [unrolled: 6-line block ×7, first 2 shown]
	v_add3_u32 v4, 0, v2, v6
	v_pk_fma_f32 v[2:3], v[32:33], 2.0, v[36:37] op_sel_hi:[1,0,1] neg_lo:[0,0,1] neg_hi:[0,0,1]
	v_and_b32_e32 v7, 1, v40
	ds_write2_b64 v4, v[2:3], v[36:37] offset1:19
	v_lshlrev_b32_e32 v2, 3, v7
	s_waitcnt lgkmcnt(0)
	s_barrier
	global_load_dwordx2 v[4:5], v2, s[16:17]
	v_and_b32_e32 v50, 1, v38
	v_lshlrev_b32_e32 v2, 3, v50
	global_load_dwordx2 v[20:21], v2, s[16:17]
	v_and_b32_e32 v51, 1, v146
	v_lshlrev_b32_e32 v2, 3, v51
	;; [unrolled: 3-line block ×4, first 2 shown]
	global_load_dwordx2 v[30:31], v2, s[16:17]
	v_mul_u32_u24_e32 v2, 0x98, v146
	v_mul_i32_i24_e32 v8, 0x98, v1
	v_mul_i32_i24_e32 v3, 0x98, v147
	v_add3_u32 v2, 0, v2, v6
	v_add3_u32 v60, 0, v8, v6
	;; [unrolled: 1-line block ×3, first 2 shown]
	ds_read_b64 v[32:33], v2
	ds_read_b64 v[34:35], v60
	;; [unrolled: 1-line block ×3, first 2 shown]
	ds_read_b64 v[42:43], v2 offset:29640
	v_mul_i32_i24_e32 v9, 0x98, v25
	v_mul_i32_i24_e32 v10, 0x98, v41
	;; [unrolled: 1-line block ×3, first 2 shown]
	v_add_u32_e32 v8, 0x3d80, v2
	v_add_u32_e32 v12, 0x4d00, v2
	;; [unrolled: 1-line block ×4, first 2 shown]
	v_add3_u32 v64, 0, v9, v6
	v_add3_u32 v65, 0, v10, v6
	;; [unrolled: 1-line block ×3, first 2 shown]
	ds_read2_b64 v[8:11], v8 offset0:8 offset1:255
	ds_read2_b64 v[12:15], v12 offset0:6 offset1:253
	ds_read2_b32 v[44:45], v16 offset0:40 offset1:41
	ds_read2_b64 v[16:19], v55 offset0:3 offset1:250
	s_movk_i32 s2, 0x3ffc
	v_and_b32_e32 v66, 3, v1
	v_and_b32_e32 v67, 3, v147
	;; [unrolled: 1-line block ×3, first 2 shown]
	s_waitcnt vmcnt(4) lgkmcnt(4)
	v_pk_mul_f32 v[46:47], v[42:43], v[4:5] op_sel:[0,1]
	s_nop 0
	v_pk_fma_f32 v[48:49], v[42:43], v[4:5], v[46:47] op_sel:[0,0,1] op_sel_hi:[1,1,0] neg_lo:[0,0,1] neg_hi:[0,0,1]
	v_pk_fma_f32 v[4:5], v[42:43], v[4:5], v[46:47] op_sel:[0,0,1] op_sel_hi:[1,0,0]
	s_nop 0
	v_mul_i32_i24_e32 v4, 0x98, v39
	v_add3_u32 v46, 0, v4, v6
	v_mov_b32_e32 v49, v5
	s_waitcnt vmcnt(3) lgkmcnt(0)
	v_pk_mul_f32 v[4:5], v[16:17], v[20:21] op_sel:[0,1]
	s_nop 0
	v_pk_fma_f32 v[42:43], v[16:17], v[20:21], v[4:5] op_sel:[0,0,1] op_sel_hi:[1,1,0] neg_lo:[0,0,1] neg_hi:[0,0,1]
	v_pk_fma_f32 v[4:5], v[16:17], v[20:21], v[4:5] op_sel:[0,0,1] op_sel_hi:[1,0,0]
	s_nop 0
	v_mov_b32_e32 v4, v45
	v_mov_b32_e32 v43, v5
	s_waitcnt vmcnt(2)
	v_pk_mul_f32 v[4:5], v[4:5], v[22:23] op_sel_hi:[0,1]
	v_pk_fma_f32 v[16:17], v[22:23], v[44:45], v[4:5] op_sel:[0,0,1] op_sel_hi:[1,1,0] neg_lo:[0,0,1] neg_hi:[0,0,1]
	v_pk_fma_f32 v[4:5], v[22:23], v[44:45], v[4:5] op_sel:[0,0,1] op_sel_hi:[1,0,0]
	s_nop 0
	v_mov_b32_e32 v17, v5
	v_pk_mul_f32 v[4:5], v[18:19], v[22:23] op_sel:[0,1]
	s_nop 0
	v_pk_fma_f32 v[20:21], v[18:19], v[22:23], v[4:5] op_sel:[0,0,1] op_sel_hi:[1,1,0] neg_lo:[0,0,1] neg_hi:[0,0,1]
	v_pk_fma_f32 v[4:5], v[18:19], v[22:23], v[4:5] op_sel:[0,0,1] op_sel_hi:[1,0,0]
	s_nop 0
	v_mov_b32_e32 v21, v5
	s_waitcnt vmcnt(1)
	v_pk_mul_f32 v[4:5], v[28:29], v[14:15] op_sel:[0,1]
	s_nop 0
	v_pk_fma_f32 v[18:19], v[28:29], v[14:15], v[4:5] op_sel:[0,0,1] op_sel_hi:[1,1,0] neg_lo:[0,0,1] neg_hi:[0,0,1]
	v_pk_fma_f32 v[4:5], v[28:29], v[14:15], v[4:5] op_sel:[0,0,1] op_sel_hi:[1,0,0]
	s_nop 0
	v_mov_b32_e32 v19, v5
	v_pk_mul_f32 v[4:5], v[22:23], v[12:13] op_sel:[0,1]
	s_nop 0
	v_pk_fma_f32 v[14:15], v[22:23], v[12:13], v[4:5] op_sel:[0,0,1] op_sel_hi:[1,1,0] neg_lo:[0,0,1] neg_hi:[0,0,1]
	v_pk_fma_f32 v[4:5], v[22:23], v[12:13], v[4:5] op_sel:[0,0,1] op_sel_hi:[1,0,0]
	s_waitcnt vmcnt(0)
	v_pk_mul_f32 v[12:13], v[30:31], v[10:11] op_sel:[0,1]
	v_lshlrev_b32_e32 v4, 1, v147
	v_pk_fma_f32 v[28:29], v[30:31], v[10:11], v[12:13] op_sel:[0,0,1] op_sel_hi:[1,1,0] neg_lo:[0,0,1] neg_hi:[0,0,1]
	v_pk_fma_f32 v[10:11], v[30:31], v[10:11], v[12:13] op_sel:[0,0,1] op_sel_hi:[1,0,0]
	v_pk_mul_f32 v[12:13], v[22:23], v[8:9] op_sel:[0,1]
	v_and_or_b32 v4, v4, s2, v53
	v_pk_fma_f32 v[30:31], v[22:23], v[8:9], v[12:13] op_sel:[0,0,1] op_sel_hi:[1,1,0] neg_lo:[0,0,1] neg_hi:[0,0,1]
	v_pk_fma_f32 v[8:9], v[22:23], v[8:9], v[12:13] op_sel:[0,0,1] op_sel_hi:[1,0,0]
	v_lshlrev_b32_e32 v15, 1, v38
	v_lshlrev_b32_e32 v29, 1, v1
	;; [unrolled: 1-line block ×5, first 2 shown]
	v_and_or_b32 v29, v29, s2, v51
	v_lshlrev_b32_e32 v31, 1, v41
	v_and_or_b32 v41, v38, s2, v51
	v_mul_i32_i24_e32 v38, 0x98, v40
	v_mul_u32_u24_e32 v4, 0x98, v4
	v_and_or_b32 v8, v8, s2, v52
	v_and_or_b32 v10, v10, 28, v51
	;; [unrolled: 1-line block ×3, first 2 shown]
	v_add3_u32 v38, 0, v38, v6
	v_lshlrev_b32_e32 v39, 1, v40
	v_add3_u32 v51, 0, v4, v6
	v_mul_u32_u24_e32 v4, 0x98, v29
	ds_read_b64 v[12:13], v64
	ds_read_b64 v[22:23], v65
	;; [unrolled: 1-line block ×4, first 2 shown]
	v_and_or_b32 v7, v39, s2, v7
	ds_read_b64 v[38:39], v38
	v_add3_u32 v52, 0, v4, v6
	v_mul_u32_u24_e32 v4, 0x98, v8
	v_and_or_b32 v15, v15, s2, v50
	v_add3_u32 v53, 0, v4, v6
	v_mul_u32_u24_e32 v4, 0x98, v31
	v_add3_u32 v54, 0, v4, v6
	v_mul_u32_u24_e32 v4, 0x98, v15
	;; [unrolled: 2-line block ×3, first 2 shown]
	v_mov_b32_e32 v31, v9
	v_mul_u32_u24_e32 v10, 0x98, v10
	v_add3_u32 v57, 0, v4, v6
	v_mul_u32_u24_e32 v4, 0x98, v7
	v_mov_b32_e32 v15, v5
	v_mov_b32_e32 v29, v11
	v_pk_add_f32 v[8:9], v[32:33], v[30:31] neg_lo:[0,1] neg_hi:[0,1]
	v_add3_u32 v50, 0, v10, v6
	v_add3_u32 v7, 0, v4, v6
	s_waitcnt lgkmcnt(0)
	v_pk_add_f32 v[40:41], v[38:39], v[48:49] neg_lo:[0,1] neg_hi:[0,1]
	v_pk_add_f32 v[42:43], v[44:45], v[42:43] neg_lo:[0,1] neg_hi:[0,1]
	;; [unrolled: 1-line block ×7, first 2 shown]
	v_pk_fma_f32 v[30:31], v[32:33], 2.0, v[8:9] op_sel_hi:[1,0,1] neg_lo:[0,0,1] neg_hi:[0,0,1]
	v_pk_fma_f32 v[38:39], v[38:39], 2.0, v[40:41] op_sel_hi:[1,0,1] neg_lo:[0,0,1] neg_hi:[0,0,1]
	;; [unrolled: 1-line block ×8, first 2 shown]
	s_barrier
	ds_write2_b64 v50, v[30:31], v[8:9] offset1:38
	ds_write2_b64 v51, v[28:29], v[10:11] offset1:38
	ds_write2_b64 v52, v[14:15], v[4:5] offset1:38
	ds_write2_b64 v53, v[12:13], v[18:19] offset1:38
	ds_write2_b64 v54, v[22:23], v[16:17] offset1:38
	ds_write2_b64 v56, v[44:45], v[42:43] offset1:38
	ds_write2_b64 v57, v[46:47], v[20:21] offset1:38
	ds_write2_b64 v7, v[38:39], v[40:41] offset1:38
	v_mul_u32_u24_e32 v4, 3, v66
	v_lshlrev_b32_e32 v7, 3, v4
	s_waitcnt lgkmcnt(0)
	s_barrier
	global_load_dwordx4 v[8:11], v7, s[16:17] offset:16
	v_mul_u32_u24_e32 v4, 3, v67
	v_lshlrev_b32_e32 v16, 3, v4
	global_load_dwordx4 v[12:15], v16, s[16:17] offset:16
	global_load_dwordx2 v[4:5], v7, s[16:17] offset:32
	global_load_dwordx2 v[40:41], v16, s[16:17] offset:32
	v_mul_u32_u24_e32 v7, 3, v68
	v_lshlrev_b32_e32 v7, 3, v7
	global_load_dwordx4 v[16:19], v7, s[16:17] offset:16
	global_load_dwordx2 v[42:43], v7, s[16:17] offset:32
	v_add_u32_e32 v7, 0x3600, v2
	ds_read2_b64 v[20:23], v7 offset0:1 offset1:248
	v_add_u32_e32 v7, 0x2680, v2
	ds_read2_b64 v[28:31], v7 offset0:3 offset1:250
	;; [unrolled: 2-line block ×3, first 2 shown]
	ds_read2_b64 v[36:39], v55 offset0:3 offset1:250
	v_add_u32_e32 v7, 0x54c0, v2
	s_movk_i32 s2, 0x7ff0
	v_lshlrev_b32_e32 v1, 2, v1
	v_and_or_b32 v1, v1, s2, v66
	v_mul_u32_u24_e32 v1, 0x98, v1
	v_add3_u32 v1, 0, v1, v6
	s_waitcnt vmcnt(5) lgkmcnt(2)
	v_pk_mul_f32 v[44:45], v[30:31], v[8:9] op_sel:[0,1]
	s_nop 0
	v_pk_fma_f32 v[46:47], v[30:31], v[8:9], v[44:45] op_sel:[0,0,1] op_sel_hi:[1,1,0] neg_lo:[0,0,1] neg_hi:[0,0,1]
	v_pk_fma_f32 v[30:31], v[30:31], v[8:9], v[44:45] op_sel:[0,0,1] op_sel_hi:[1,0,0]
	v_mov_b32_e32 v8, v11
	s_waitcnt lgkmcnt(1)
	v_pk_mul_f32 v[8:9], v[34:35], v[8:9] op_sel_hi:[1,0]
	s_waitcnt vmcnt(3) lgkmcnt(0)
	v_pk_mul_f32 v[50:51], v[38:39], v[4:5] op_sel:[0,1]
	v_pk_fma_f32 v[44:45], v[34:35], v[10:11], v[8:9] op_sel:[0,0,1] op_sel_hi:[1,1,0] neg_lo:[0,0,1] neg_hi:[0,0,1]
	v_pk_fma_f32 v[34:35], v[34:35], v[10:11], v[8:9] op_sel:[0,0,1] op_sel_hi:[1,0,0]
	v_pk_mul_f32 v[8:9], v[12:13], v[28:29] op_sel:[0,1]
	v_pk_fma_f32 v[54:55], v[38:39], v[4:5], v[50:51] op_sel:[0,0,1] op_sel_hi:[1,1,0] neg_lo:[0,0,1] neg_hi:[0,0,1]
	v_pk_fma_f32 v[48:49], v[12:13], v[28:29], v[8:9] op_sel:[0,0,1] op_sel_hi:[1,1,0] neg_lo:[0,0,1] neg_hi:[0,0,1]
	v_pk_fma_f32 v[28:29], v[12:13], v[28:29], v[8:9] op_sel:[0,0,1] op_sel_hi:[1,0,0]
	v_and_b32_e32 v8, 3, v146
	v_mul_u32_u24_e32 v8, 3, v8
	v_lshlrev_b32_e32 v28, 3, v8
	global_load_dwordx4 v[8:11], v28, s[16:17] offset:16
	v_pk_fma_f32 v[4:5], v[38:39], v[4:5], v[50:51] op_sel:[0,0,1] op_sel_hi:[1,0,0]
	global_load_dwordx2 v[38:39], v28, s[16:17] offset:32
	v_mov_b32_e32 v12, v15
	v_pk_mul_f32 v[12:13], v[32:33], v[12:13] op_sel_hi:[1,0]
	s_waitcnt vmcnt(4)
	v_pk_mul_f32 v[50:51], v[36:37], v[40:41] op_sel:[0,1]
	v_pk_fma_f32 v[52:53], v[32:33], v[14:15], v[12:13] op_sel:[0,0,1] op_sel_hi:[1,1,0] neg_lo:[0,0,1] neg_hi:[0,0,1]
	v_pk_fma_f32 v[32:33], v[32:33], v[14:15], v[12:13] op_sel:[0,0,1] op_sel_hi:[1,0,0]
	ds_read2_b64 v[12:15], v7 offset0:5 offset1:252
	s_waitcnt vmcnt(3)
	v_mov_b32_e32 v4, v17
	v_pk_fma_f32 v[56:57], v[36:37], v[40:41], v[50:51] op_sel:[0,0,1] op_sel_hi:[1,1,0] neg_lo:[0,0,1] neg_hi:[0,0,1]
	v_pk_fma_f32 v[36:37], v[36:37], v[40:41], v[50:51] op_sel:[0,0,1] op_sel_hi:[1,0,0]
	v_pk_mul_f32 v[40:41], v[20:21], v[4:5] op_sel:[1,0] op_sel_hi:[0,1]
	v_mov_b32_e32 v4, v19
	s_waitcnt lgkmcnt(0)
	v_pk_mul_f32 v[58:59], v[12:13], v[18:19] op_sel:[1,0] op_sel_hi:[0,1]
	v_pk_mul_f32 v[50:51], v[12:13], v[4:5] op_sel:[1,0] op_sel_hi:[0,1]
	v_mov_b32_e32 v7, v58
	v_pk_fma_f32 v[50:51], v[12:13], v[18:19], v[50:51] neg_lo:[0,0,1] neg_hi:[0,0,1]
	v_pk_fma_f32 v[12:13], v[12:13], v[18:19], v[6:7] op_sel:[1,0,0] op_sel_hi:[0,1,1]
	ds_read_b64 v[18:19], v2 offset:29640
	s_waitcnt vmcnt(2)
	v_mov_b32_e32 v4, v43
	v_pk_fma_f32 v[40:41], v[20:21], v[16:17], v[40:41] neg_lo:[0,0,1] neg_hi:[0,0,1]
	v_pk_mul_f32 v[16:17], v[20:21], v[16:17] op_sel:[1,0] op_sel_hi:[0,1]
	ds_read_b64 v[20:21], v60
	ds_read_b64 v[58:59], v3
	;; [unrolled: 1-line block ×3, first 2 shown]
	s_waitcnt lgkmcnt(3)
	v_pk_mul_f32 v[62:63], v[18:19], v[4:5] op_sel:[1,0] op_sel_hi:[0,1]
	v_pk_fma_f32 v[62:63], v[18:19], v[42:43], v[62:63] neg_lo:[0,0,1] neg_hi:[0,0,1]
	v_pk_mul_f32 v[18:19], v[18:19], v[42:43] op_sel:[1,0] op_sel_hi:[0,1]
	v_lshlrev_b32_e32 v4, 2, v147
	v_mov_b32_e32 v42, v16
	v_mov_b32_e32 v43, v18
	;; [unrolled: 1-line block ×3, first 2 shown]
	v_and_or_b32 v7, v4, s2, v67
	v_mov_b32_e32 v51, v13
	v_mov_b32_e32 v55, v5
	ds_read_b64 v[4:5], v65
	ds_read_b64 v[12:13], v64
	v_pk_add_f32 v[16:17], v[42:43], v[18:19]
	v_mul_u32_u24_e32 v7, 0x98, v7
	v_mov_b32_e32 v41, v16
	v_mov_b32_e32 v63, v17
	v_lshlrev_b32_e32 v16, 2, v25
	v_lshlrev_b32_e32 v17, 2, v146
	v_and_or_b32 v16, v16, s2, v68
	v_bitop3_b32 v17, v17, 51, v146 bitop3:0xc8
	v_mul_u32_u24_e32 v17, 0x98, v17
	v_add3_u32 v64, 0, v7, v6
	v_mul_u32_u24_e32 v7, 0x98, v16
	v_add3_u32 v25, 0, v17, v6
	v_add3_u32 v65, 0, v7, v6
	s_waitcnt lgkmcnt(0)
	v_pk_add_f32 v[6:7], v[12:13], v[50:51] neg_lo:[0,1] neg_hi:[0,1]
	v_pk_add_f32 v[16:17], v[40:41], v[62:63] neg_lo:[0,1] neg_hi:[0,1]
	v_mov_b32_e32 v45, v35
	v_pk_fma_f32 v[12:13], v[12:13], 2.0, v[6:7] op_sel_hi:[1,0,1] neg_lo:[0,0,1] neg_hi:[0,0,1]
	v_pk_fma_f32 v[18:19], v[40:41], 2.0, v[16:17] op_sel_hi:[1,0,1] neg_lo:[0,0,1] neg_hi:[0,0,1]
	v_mov_b32_e32 v49, v29
	v_pk_add_f32 v[50:51], v[12:13], v[18:19] neg_lo:[0,1] neg_hi:[0,1]
	v_pk_add_f32 v[18:19], v[20:21], v[44:45] neg_lo:[0,1] neg_hi:[0,1]
	v_mov_b32_e32 v53, v33
	v_mov_b32_e32 v57, v37
	v_pk_add_f32 v[28:29], v[58:59], v[52:53] neg_lo:[0,1] neg_hi:[0,1]
	v_pk_add_f32 v[36:37], v[48:49], v[56:57] neg_lo:[0,1] neg_hi:[0,1]
	v_pk_fma_f32 v[32:33], v[58:59], 2.0, v[28:29] op_sel_hi:[1,0,1] neg_lo:[0,0,1] neg_hi:[0,0,1]
	v_pk_fma_f32 v[40:41], v[48:49], 2.0, v[36:37] op_sel_hi:[1,0,1] neg_lo:[0,0,1] neg_hi:[0,0,1]
	s_barrier
	v_mov_b32_e32 v47, v31
	v_pk_add_f32 v[40:41], v[32:33], v[40:41] neg_lo:[0,1] neg_hi:[0,1]
	v_pk_add_f32 v[30:31], v[46:47], v[54:55] neg_lo:[0,1] neg_hi:[0,1]
	v_pk_fma_f32 v[32:33], v[32:33], 2.0, v[40:41] op_sel_hi:[1,0,1] neg_lo:[0,0,1] neg_hi:[0,0,1]
	v_pk_fma_f32 v[20:21], v[20:21], 2.0, v[18:19] op_sel_hi:[1,0,1] neg_lo:[0,0,1] neg_hi:[0,0,1]
	;; [unrolled: 1-line block ×3, first 2 shown]
	v_pk_add_f32 v[54:55], v[6:7], v[16:17] op_sel:[0,1] op_sel_hi:[1,0] neg_lo:[0,1] neg_hi:[0,1]
	v_pk_add_f32 v[52:53], v[6:7], v[16:17] op_sel:[0,1] op_sel_hi:[1,0]
	v_pk_add_f32 v[34:35], v[20:21], v[34:35] neg_lo:[0,1] neg_hi:[0,1]
	v_mov_b32_e32 v55, v53
	v_pk_fma_f32 v[12:13], v[12:13], 2.0, v[50:51] op_sel_hi:[1,0,1] neg_lo:[0,0,1] neg_hi:[0,0,1]
	v_pk_fma_f32 v[20:21], v[20:21], 2.0, v[34:35] op_sel_hi:[1,0,1] neg_lo:[0,0,1] neg_hi:[0,0,1]
	v_cmp_gt_u32_e64 s[2:3], 57, v0
                                        ; implicit-def: $vgpr49
                                        ; implicit-def: $vgpr47
	s_waitcnt vmcnt(1)
	v_pk_mul_f32 v[42:43], v[8:9], v[4:5] op_sel:[0,1]
	s_nop 0
	v_pk_fma_f32 v[44:45], v[8:9], v[4:5], v[42:43] op_sel:[0,0,1] op_sel_hi:[1,1,0] neg_lo:[0,0,1] neg_hi:[0,0,1]
	v_pk_fma_f32 v[4:5], v[8:9], v[4:5], v[42:43] op_sel:[0,0,1] op_sel_hi:[1,0,0]
                                        ; implicit-def: $vgpr43
	s_nop 0
	v_mov_b32_e32 v45, v5
	v_pk_mul_f32 v[4:5], v[10:11], v[22:23] op_sel:[0,1]
	s_nop 0
	v_pk_fma_f32 v[8:9], v[10:11], v[22:23], v[4:5] op_sel:[0,0,1] op_sel_hi:[1,1,0] neg_lo:[0,0,1] neg_hi:[0,0,1]
	v_pk_fma_f32 v[4:5], v[10:11], v[22:23], v[4:5] op_sel:[0,0,1] op_sel_hi:[1,0,0]
	s_nop 0
	v_mov_b32_e32 v9, v5
	s_waitcnt vmcnt(0)
	v_pk_mul_f32 v[4:5], v[38:39], v[14:15] op_sel:[0,1]
	s_nop 0
	v_pk_fma_f32 v[10:11], v[38:39], v[14:15], v[4:5] op_sel:[0,0,1] op_sel_hi:[1,1,0] neg_lo:[0,0,1] neg_hi:[0,0,1]
	v_pk_fma_f32 v[4:5], v[38:39], v[14:15], v[4:5] op_sel:[0,0,1] op_sel_hi:[1,0,0]
                                        ; implicit-def: $vgpr39
	s_nop 0
	v_mov_b32_e32 v11, v5
	v_pk_add_f32 v[4:5], v[60:61], v[8:9] neg_lo:[0,1] neg_hi:[0,1]
	v_pk_add_f32 v[10:11], v[44:45], v[10:11] neg_lo:[0,1] neg_hi:[0,1]
	v_pk_fma_f32 v[8:9], v[60:61], 2.0, v[4:5] op_sel_hi:[1,0,1] neg_lo:[0,0,1] neg_hi:[0,0,1]
	v_pk_fma_f32 v[14:15], v[44:45], 2.0, v[10:11] op_sel_hi:[1,0,1] neg_lo:[0,0,1] neg_hi:[0,0,1]
	v_pk_add_f32 v[22:23], v[4:5], v[10:11] op_sel:[0,1] op_sel_hi:[1,0] neg_lo:[0,1] neg_hi:[0,1]
	v_pk_add_f32 v[10:11], v[4:5], v[10:11] op_sel:[0,1] op_sel_hi:[1,0]
	v_pk_add_f32 v[14:15], v[8:9], v[14:15] neg_lo:[0,1] neg_hi:[0,1]
	v_mov_b32_e32 v23, v11
	v_pk_fma_f32 v[8:9], v[8:9], 2.0, v[14:15] op_sel_hi:[1,0,1] neg_lo:[0,0,1] neg_hi:[0,0,1]
	v_pk_fma_f32 v[4:5], v[4:5], 2.0, v[22:23] op_sel_hi:[1,0,1] neg_lo:[0,0,1] neg_hi:[0,0,1]
	ds_write2_b64 v25, v[8:9], v[4:5] offset1:76
	ds_write2_b64 v25, v[14:15], v[22:23] offset0:152 offset1:228
	v_pk_add_f32 v[4:5], v[28:29], v[36:37] op_sel:[0,1] op_sel_hi:[1,0] neg_lo:[0,1] neg_hi:[0,1]
	v_pk_add_f32 v[8:9], v[28:29], v[36:37] op_sel:[0,1] op_sel_hi:[1,0]
                                        ; implicit-def: $vgpr45
                                        ; implicit-def: $vgpr37
	s_nop 0
	v_mov_b32_e32 v5, v9
	v_pk_fma_f32 v[8:9], v[28:29], 2.0, v[4:5] op_sel_hi:[1,0,1] neg_lo:[0,0,1] neg_hi:[0,0,1]
	ds_write2_b64 v64, v[32:33], v[8:9] offset1:76
	ds_write2_b64 v64, v[40:41], v[4:5] offset0:152 offset1:228
	v_pk_add_f32 v[4:5], v[18:19], v[30:31] op_sel:[0,1] op_sel_hi:[1,0] neg_lo:[0,1] neg_hi:[0,1]
	v_pk_add_f32 v[8:9], v[18:19], v[30:31] op_sel:[0,1] op_sel_hi:[1,0]
	v_pk_fma_f32 v[28:29], v[6:7], 2.0, v[54:55] op_sel_hi:[1,0,1] neg_lo:[0,0,1] neg_hi:[0,0,1]
	v_mov_b32_e32 v5, v9
	v_pk_fma_f32 v[8:9], v[18:19], 2.0, v[4:5] op_sel_hi:[1,0,1] neg_lo:[0,0,1] neg_hi:[0,0,1]
	ds_write2_b64 v1, v[20:21], v[8:9] offset1:76
	ds_write2_b64 v1, v[34:35], v[4:5] offset0:152 offset1:228
	ds_write2_b64 v65, v[12:13], v[28:29] offset1:76
	ds_write2_b64 v65, v[50:51], v[54:55] offset0:152 offset1:228
	s_waitcnt lgkmcnt(0)
	s_barrier
	ds_read_b64 v[56:57], v2
	ds_read_b64 v[124:125], v2 offset:2432
	ds_read_b64 v[122:123], v2 offset:4864
	;; [unrolled: 1-line block ×12, first 2 shown]
                                        ; implicit-def: $vgpr31
                                        ; implicit-def: $vgpr33
                                        ; implicit-def: $vgpr35
                                        ; implicit-def: $vgpr41
	s_and_saveexec_b64 s[18:19], s[2:3]
	s_cbranch_execz .LBB0_16
; %bb.15:
	ds_read_b64 v[28:29], v3
	ds_read_b64 v[50:51], v2 offset:4408
	ds_read_b64 v[52:53], v2 offset:6840
	;; [unrolled: 1-line block ×12, first 2 shown]
	s_waitcnt lgkmcnt(10)
	v_mov_b32_e32 v54, v52
.LBB0_16:
	s_or_b64 exec, exec, s[18:19]
	v_mul_u32_u24_e32 v0, 12, v146
	v_lshlrev_b32_e32 v0, 3, v0
	global_load_dwordx4 v[16:19], v0, s[16:17] offset:128
	global_load_dwordx4 v[12:15], v0, s[16:17] offset:144
	;; [unrolled: 1-line block ×5, first 2 shown]
	v_mul_lo_u32 v1, v26, v146
	v_mov_b32_e32 v136, 3
	v_lshlrev_b32_sdwa v64, v136, v1 dst_sel:DWORD dst_unused:UNUSED_PAD src0_sel:DWORD src1_sel:BYTE_0
	v_lshlrev_b32_sdwa v65, v136, v1 dst_sel:DWORD dst_unused:UNUSED_PAD src0_sel:DWORD src1_sel:BYTE_1
	global_load_dwordx4 v[0:3], v0, s[16:17] offset:192
	s_load_dwordx2 s[0:1], s[0:1], 0x8
	v_or_b32_e32 v25, 16, v146
	v_or_b32_e32 v55, 32, v146
	;; [unrolled: 1-line block ×9, first 2 shown]
	v_mul_lo_u32 v66, v26, v25
	v_mul_lo_u32 v67, v26, v55
	;; [unrolled: 1-line block ×9, first 2 shown]
	v_lshlrev_b32_sdwa v85, v136, v66 dst_sel:DWORD dst_unused:UNUSED_PAD src0_sel:DWORD src1_sel:BYTE_0
	v_lshlrev_b32_sdwa v66, v136, v66 dst_sel:DWORD dst_unused:UNUSED_PAD src0_sel:DWORD src1_sel:BYTE_1
	v_lshlrev_b32_sdwa v86, v136, v67 dst_sel:DWORD dst_unused:UNUSED_PAD src0_sel:DWORD src1_sel:BYTE_0
	v_lshlrev_b32_sdwa v87, v136, v78 dst_sel:DWORD dst_unused:UNUSED_PAD src0_sel:DWORD src1_sel:BYTE_0
	v_lshlrev_b32_sdwa v78, v136, v78 dst_sel:DWORD dst_unused:UNUSED_PAD src0_sel:DWORD src1_sel:BYTE_1
	v_lshlrev_b32_sdwa v88, v136, v79 dst_sel:DWORD dst_unused:UNUSED_PAD src0_sel:DWORD src1_sel:BYTE_0
	v_lshlrev_b32_sdwa v79, v136, v79 dst_sel:DWORD dst_unused:UNUSED_PAD src0_sel:DWORD src1_sel:BYTE_1
	;; [unrolled: 2-line block ×5, first 2 shown]
	v_lshlrev_b32_sdwa v67, v136, v67 dst_sel:DWORD dst_unused:UNUSED_PAD src0_sel:DWORD src1_sel:BYTE_1
	v_lshlrev_b32_sdwa v126, v136, v83 dst_sel:DWORD dst_unused:UNUSED_PAD src0_sel:DWORD src1_sel:BYTE_0
	v_lshlrev_b32_sdwa v127, v136, v83 dst_sel:DWORD dst_unused:UNUSED_PAD src0_sel:DWORD src1_sel:BYTE_1
	v_lshlrev_b32_sdwa v128, v136, v84 dst_sel:DWORD dst_unused:UNUSED_PAD src0_sel:DWORD src1_sel:BYTE_0
	v_lshlrev_b32_sdwa v129, v136, v84 dst_sel:DWORD dst_unused:UNUSED_PAD src0_sel:DWORD src1_sel:BYTE_1
	s_waitcnt lgkmcnt(0)
	global_load_dwordx2 v[102:103], v66, s[0:1] offset:2048
	global_load_dwordx2 v[108:109], v85, s[0:1]
	global_load_dwordx2 v[114:115], v65, s[0:1] offset:2048
	global_load_dwordx2 v[116:117], v64, s[0:1]
	;; [unrolled: 2-line block ×4, first 2 shown]
                                        ; kill: killed $vgpr87
                                        ; kill: killed $vgpr66
                                        ; kill: killed $vgpr86
                                        ; kill: killed $vgpr65
                                        ; kill: killed $vgpr85
                                        ; kill: killed $vgpr64
                                        ; kill: killed $vgpr78
                                        ; kill: killed $vgpr67
	global_load_dwordx2 v[92:93], v80, s[0:1] offset:2048
	global_load_dwordx2 v[96:97], v89, s[0:1]
	global_load_dwordx2 v[106:107], v79, s[0:1] offset:2048
	global_load_dwordx2 v[112:113], v88, s[0:1]
                                        ; kill: killed $vgpr80
                                        ; kill: killed $vgpr79
                                        ; kill: killed $vgpr89
                                        ; kill: killed $vgpr88
	global_load_dwordx2 v[82:83], v99, s[0:1] offset:2048
	global_load_dwordx2 v[84:85], v98, s[0:1]
                                        ; kill: killed $vgpr99
                                        ; kill: killed $vgpr98
	s_nop 0
	global_load_dwordx2 v[98:99], v81, s[0:1] offset:2048
	s_nop 0
	global_load_dwordx2 v[100:101], v100, s[0:1]
	s_nop 0
	global_load_dwordx2 v[78:79], v129, s[0:1] offset:2048
	global_load_dwordx2 v[80:81], v128, s[0:1]
	global_load_dwordx2 v[86:87], v127, s[0:1] offset:2048
	global_load_dwordx2 v[88:89], v126, s[0:1]
	v_or_b32_e32 v155, 0xb0, v146
	v_or_b32_e32 v154, 0xa0, v146
	;; [unrolled: 1-line block ×3, first 2 shown]
	s_mov_b32 s20, 0xbeedf032
	s_mov_b32 s18, 0x3f62ad3f
	;; [unrolled: 1-line block ×16, first 2 shown]
	s_andn2_b64 vcc, exec, s[4:5]
	s_waitcnt vmcnt(25)
	v_pk_mul_f32 v[66:67], v[16:17], v[62:63] op_sel:[1,1] op_sel_hi:[0,1]
	s_waitcnt vmcnt(24)
	v_pk_mul_f32 v[128:129], v[12:13], v[70:71] op_sel:[0,1]
	v_pk_mul_f32 v[130:131], v[14:15], v[72:73] op_sel:[0,1]
	s_waitcnt vmcnt(23)
	v_pk_mul_f32 v[132:133], v[8:9], v[74:75] op_sel:[0,1]
	s_waitcnt vmcnt(22)
	v_pk_mul_f32 v[138:139], v[4:5], v[124:125] op_sel:[0,1]
	v_pk_mul_f32 v[126:127], v[18:19], v[68:69] op_sel:[0,1]
	;; [unrolled: 1-line block ×4, first 2 shown]
	v_pk_fma_f32 v[64:65], v[16:17], v[62:63], v[66:67] neg_lo:[0,0,1] neg_hi:[0,0,1]
	v_pk_fma_f32 v[66:67], v[16:17], v[62:63], v[66:67] op_sel_hi:[1,0,1]
	v_pk_fma_f32 v[16:17], v[12:13], v[70:71], v[128:129] op_sel:[0,0,1] op_sel_hi:[1,1,0] neg_lo:[0,0,1] neg_hi:[0,0,1]
	v_pk_fma_f32 v[70:71], v[12:13], v[70:71], v[128:129] op_sel:[0,0,1] op_sel_hi:[1,0,0]
	v_pk_fma_f32 v[12:13], v[14:15], v[72:73], v[130:131] op_sel:[0,0,1] op_sel_hi:[1,1,0] neg_lo:[0,0,1] neg_hi:[0,0,1]
	v_pk_fma_f32 v[72:73], v[14:15], v[72:73], v[130:131] op_sel:[0,0,1] op_sel_hi:[1,0,0]
	;; [unrolled: 2-line block ×3, first 2 shown]
	v_pk_fma_f32 v[8:9], v[4:5], v[124:125], v[138:139] op_sel:[0,0,1] op_sel_hi:[1,1,0] neg_lo:[0,0,1] neg_hi:[0,0,1]
	v_pk_fma_f32 v[62:63], v[18:19], v[68:69], v[126:127] op_sel:[0,0,1] op_sel_hi:[1,1,0] neg_lo:[0,0,1] neg_hi:[0,0,1]
	v_pk_fma_f32 v[68:69], v[18:19], v[68:69], v[126:127] op_sel:[0,0,1] op_sel_hi:[1,0,0]
	v_pk_fma_f32 v[18:19], v[10:11], v[76:77], v[134:135] op_sel:[0,0,1] op_sel_hi:[1,1,0] neg_lo:[0,0,1] neg_hi:[0,0,1]
	v_pk_fma_f32 v[76:77], v[10:11], v[76:77], v[134:135] op_sel:[0,0,1] op_sel_hi:[1,0,0]
	v_pk_fma_f32 v[10:11], v[4:5], v[124:125], v[138:139] op_sel:[0,0,1] op_sel_hi:[1,0,0]
	v_pk_fma_f32 v[4:5], v[6:7], v[122:123], v[140:141] op_sel:[0,0,1] op_sel_hi:[1,1,0] neg_lo:[0,0,1] neg_hi:[0,0,1]
	v_mul_lo_u32 v9, v26, v155
	v_pk_fma_f32 v[6:7], v[6:7], v[122:123], v[140:141] op_sel:[0,0,1] op_sel_hi:[1,0,0]
	v_mul_lo_u32 v5, v26, v154
	v_lshlrev_b32_sdwa v10, v136, v9 dst_sel:DWORD dst_unused:UNUSED_PAD src0_sel:DWORD src1_sel:BYTE_0
	v_lshlrev_b32_sdwa v9, v136, v9 dst_sel:DWORD dst_unused:UNUSED_PAD src0_sel:DWORD src1_sel:BYTE_1
	s_waitcnt vmcnt(21)
	v_pk_mul_f32 v[126:127], v[120:121], v[20:21] op_sel:[0,1]
	v_lshlrev_b32_sdwa v6, v136, v5 dst_sel:DWORD dst_unused:UNUSED_PAD src0_sel:DWORD src1_sel:BYTE_0
	v_lshlrev_b32_sdwa v5, v136, v5 dst_sel:DWORD dst_unused:UNUSED_PAD src0_sel:DWORD src1_sel:BYTE_1
	global_load_dwordx2 v[124:125], v9, s[0:1] offset:2048
	global_load_dwordx2 v[128:129], v10, s[0:1]
	global_load_dwordx2 v[130:131], v5, s[0:1] offset:2048
                                        ; kill: killed $vgpr5
                                        ; kill: killed $vgpr10
	global_load_dwordx2 v[132:133], v6, s[0:1]
	v_pk_fma_f32 v[122:123], v[120:121], v[20:21], v[126:127] op_sel:[0,0,1] op_sel_hi:[1,1,0] neg_lo:[0,0,1] neg_hi:[0,0,1]
	v_pk_fma_f32 v[126:127], v[120:121], v[20:21], v[126:127] op_sel:[0,0,1] op_sel_hi:[1,0,0]
	v_mov_b32_e32 v6, v23
	v_and_b32_e32 v126, 15, v147
	v_mul_lo_u32 v9, v26, v126
	v_pk_mul_f32 v[120:121], v[118:119], v[6:7] op_sel_hi:[1,0]
	v_mul_lo_u32 v6, v26, v156
	v_lshlrev_b32_sdwa v10, v136, v9 dst_sel:DWORD dst_unused:UNUSED_PAD src0_sel:DWORD src1_sel:BYTE_0
	v_pk_fma_f32 v[20:21], v[118:119], v[22:23], v[120:121] op_sel:[0,0,1] op_sel_hi:[1,1,0] neg_lo:[0,0,1] neg_hi:[0,0,1]
	v_pk_fma_f32 v[22:23], v[118:119], v[22:23], v[120:121] op_sel:[0,0,1] op_sel_hi:[1,0,0]
	v_lshlrev_b32_sdwa v5, v136, v6 dst_sel:DWORD dst_unused:UNUSED_PAD src0_sel:DWORD src1_sel:BYTE_0
	v_lshlrev_b32_sdwa v6, v136, v6 dst_sel:DWORD dst_unused:UNUSED_PAD src0_sel:DWORD src1_sel:BYTE_1
	v_lshlrev_b32_sdwa v9, v136, v9 dst_sel:DWORD dst_unused:UNUSED_PAD src0_sel:DWORD src1_sel:BYTE_1
	global_load_dwordx2 v[118:119], v10, s[0:1]
	global_load_dwordx2 v[120:121], v9, s[0:1] offset:2048
	global_load_dwordx2 v[138:139], v6, s[0:1] offset:2048
	global_load_dwordx2 v[140:141], v5, s[0:1]
	s_waitcnt vmcnt(28)
	v_pk_mul_f32 v[134:135], v[60:61], v[0:1] op_sel:[0,1]
	v_mov_b32_e32 v6, v3
	v_pk_fma_f32 v[142:143], v[60:61], v[0:1], v[134:135] op_sel:[0,0,1] op_sel_hi:[1,1,0] neg_lo:[0,0,1] neg_hi:[0,0,1]
	v_pk_fma_f32 v[60:61], v[60:61], v[0:1], v[134:135] op_sel:[0,0,1] op_sel_hi:[1,0,0]
	v_pk_mul_f32 v[0:1], v[58:59], v[6:7] op_sel_hi:[1,0]
	s_waitcnt vmcnt(23)
	v_mov_b32_e32 v6, v91
	v_pk_fma_f32 v[144:145], v[58:59], v[2:3], v[0:1] op_sel:[0,0,1] op_sel_hi:[1,1,0] neg_lo:[0,0,1] neg_hi:[0,0,1]
	v_pk_fma_f32 v[58:59], v[58:59], v[2:3], v[0:1] op_sel:[0,0,1] op_sel_hi:[1,0,0]
	v_mov_b32_e32 v0, v115
	v_pk_mul_f32 v[2:3], v[116:117], v[114:115] op_sel:[1,0] op_sel_hi:[0,1]
	v_pk_mul_f32 v[0:1], v[116:117], v[0:1] op_sel:[1,0] op_sel_hi:[0,1]
	v_mov_b32_e32 v2, v3
	v_pk_fma_f32 v[158:159], v[116:117], v[114:115], v[0:1] neg_lo:[0,0,1] neg_hi:[0,0,1]
	v_pk_fma_f32 v[114:115], v[116:117], v[114:115], v[2:3] op_sel:[1,0,0] op_sel_hi:[0,1,1]
	v_mov_b32_e32 v0, v103
	v_pk_mul_f32 v[2:3], v[108:109], v[102:103] op_sel:[1,0] op_sel_hi:[0,1]
	v_pk_mul_f32 v[0:1], v[108:109], v[0:1] op_sel:[1,0] op_sel_hi:[0,1]
	v_mov_b32_e32 v2, v3
	v_pk_fma_f32 v[160:161], v[108:109], v[102:103], v[0:1] neg_lo:[0,0,1] neg_hi:[0,0,1]
	v_pk_fma_f32 v[162:163], v[108:109], v[102:103], v[2:3] op_sel:[1,0,0] op_sel_hi:[0,1,1]
	s_waitcnt vmcnt(21)
	v_mov_b32_e32 v0, v105
	s_waitcnt vmcnt(20)
	v_pk_mul_f32 v[2:3], v[110:111], v[104:105] op_sel:[1,0] op_sel_hi:[0,1]
	v_pk_mul_f32 v[0:1], v[110:111], v[0:1] op_sel:[1,0] op_sel_hi:[0,1]
	v_mov_b32_e32 v2, v3
	v_pk_fma_f32 v[0:1], v[110:111], v[104:105], v[0:1] neg_lo:[0,0,1] neg_hi:[0,0,1]
	v_pk_fma_f32 v[2:3], v[110:111], v[104:105], v[2:3] op_sel:[1,0,0] op_sel_hi:[0,1,1]
	v_pk_mul_f32 v[104:105], v[94:95], v[90:91] op_sel:[1,0] op_sel_hi:[0,1]
	v_pk_mul_f32 v[102:103], v[94:95], v[6:7] op_sel:[1,0] op_sel_hi:[0,1]
	v_mov_b32_e32 v6, v105
	v_pk_fma_f32 v[102:103], v[94:95], v[90:91], v[102:103] neg_lo:[0,0,1] neg_hi:[0,0,1]
	v_pk_fma_f32 v[90:91], v[94:95], v[90:91], v[6:7] op_sel:[1,0,0] op_sel_hi:[0,1,1]
	s_waitcnt vmcnt(17)
	v_mov_b32_e32 v6, v107
	s_waitcnt vmcnt(16)
	v_pk_mul_f32 v[104:105], v[112:113], v[106:107] op_sel:[1,0] op_sel_hi:[0,1]
	v_pk_mul_f32 v[94:95], v[112:113], v[6:7] op_sel:[1,0] op_sel_hi:[0,1]
	v_mov_b32_e32 v6, v105
	v_pk_fma_f32 v[104:105], v[112:113], v[106:107], v[6:7] op_sel:[1,0,0] op_sel_hi:[0,1,1]
	v_mov_b32_e32 v6, v93
	v_pk_fma_f32 v[94:95], v[112:113], v[106:107], v[94:95] neg_lo:[0,0,1] neg_hi:[0,0,1]
	v_pk_mul_f32 v[106:107], v[96:97], v[6:7] op_sel:[1,0] op_sel_hi:[0,1]
	v_pk_fma_f32 v[164:165], v[96:97], v[92:93], v[106:107] neg_lo:[0,0,1] neg_hi:[0,0,1]
	v_pk_mul_f32 v[106:107], v[96:97], v[92:93] op_sel:[1,0] op_sel_hi:[0,1]
	v_mov_b32_e32 v6, v107
	v_pk_fma_f32 v[166:167], v[96:97], v[92:93], v[6:7] op_sel:[1,0,0] op_sel_hi:[0,1,1]
	s_waitcnt vmcnt(13)
	v_mov_b32_e32 v6, v99
	s_waitcnt vmcnt(12)
	v_pk_mul_f32 v[92:93], v[100:101], v[6:7] op_sel:[1,0] op_sel_hi:[0,1]
	v_pk_fma_f32 v[168:169], v[100:101], v[98:99], v[92:93] neg_lo:[0,0,1] neg_hi:[0,0,1]
	v_pk_mul_f32 v[92:93], v[100:101], v[98:99] op_sel:[1,0] op_sel_hi:[0,1]
	v_mov_b32_e32 v6, v93
	v_pk_fma_f32 v[170:171], v[100:101], v[98:99], v[6:7] op_sel:[1,0,0] op_sel_hi:[0,1,1]
	v_mov_b32_e32 v6, v83
	v_pk_mul_f32 v[92:93], v[84:85], v[6:7] op_sel:[1,0] op_sel_hi:[0,1]
	v_pk_fma_f32 v[172:173], v[84:85], v[82:83], v[92:93] neg_lo:[0,0,1] neg_hi:[0,0,1]
	v_pk_mul_f32 v[92:93], v[84:85], v[82:83] op_sel:[1,0] op_sel_hi:[0,1]
	v_mov_b32_e32 v6, v93
	v_pk_fma_f32 v[174:175], v[84:85], v[82:83], v[6:7] op_sel:[1,0,0] op_sel_hi:[0,1,1]
	s_waitcnt vmcnt(9)
	v_mov_b32_e32 v6, v87
	s_waitcnt vmcnt(8)
	v_pk_mul_f32 v[82:83], v[88:89], v[6:7] op_sel:[1,0] op_sel_hi:[0,1]
	v_pk_fma_f32 v[176:177], v[88:89], v[86:87], v[82:83] neg_lo:[0,0,1] neg_hi:[0,0,1]
	v_pk_mul_f32 v[82:83], v[88:89], v[86:87] op_sel:[1,0] op_sel_hi:[0,1]
	v_mov_b32_e32 v6, v83
	v_pk_fma_f32 v[178:179], v[88:89], v[86:87], v[6:7] op_sel:[1,0,0] op_sel_hi:[0,1,1]
	v_mov_b32_e32 v6, v79
	;; [unrolled: 14-line block ×3, first 2 shown]
	v_pk_mul_f32 v[80:81], v[128:129], v[124:125] op_sel:[1,0] op_sel_hi:[0,1]
	v_pk_mul_f32 v[78:79], v[128:129], v[6:7] op_sel:[1,0] op_sel_hi:[0,1]
	v_mov_b32_e32 v6, v81
	v_pk_fma_f32 v[82:83], v[128:129], v[124:125], v[6:7] op_sel:[1,0,0] op_sel_hi:[0,1,1]
	s_waitcnt vmcnt(1)
	v_mov_b32_e32 v6, v139
	s_waitcnt vmcnt(0)
	v_pk_mul_f32 v[84:85], v[140:141], v[138:139] op_sel:[1,0] op_sel_hi:[0,1]
	v_pk_mul_f32 v[80:81], v[140:141], v[6:7] op_sel:[1,0] op_sel_hi:[0,1]
	v_mov_b32_e32 v6, v85
	v_mov_b32_e32 v9, v11
	v_pk_fma_f32 v[84:85], v[140:141], v[138:139], v[6:7] op_sel:[1,0,0] op_sel_hi:[0,1,1]
	v_mov_b32_e32 v5, v7
	v_pk_add_f32 v[6:7], v[8:9], v[56:57]
	v_mov_b32_e32 v65, v67
	v_pk_add_f32 v[6:7], v[6:7], v[4:5]
	;; [unrolled: 2-line block ×11, first 2 shown]
	v_pk_add_f32 v[116:117], v[8:9], v[144:145] neg_lo:[0,1] neg_hi:[0,1]
	v_pk_add_f32 v[6:7], v[6:7], v[144:145]
	v_pk_add_f32 v[112:113], v[8:9], v[144:145]
	v_pk_mul_f32 v[10:11], v[6:7], v[114:115] op_sel_hi:[1,0]
	v_pk_add_f32 v[114:115], v[4:5], v[142:143] neg_lo:[0,1] neg_hi:[0,1]
	v_pk_mul_f32 v[8:9], v[116:117], s[20:21] op_sel:[1,0] op_sel_hi:[0,0]
	v_pk_fma_f32 v[58:59], v[6:7], v[158:159], v[10:11] op_sel:[0,0,1] op_sel_hi:[1,1,0] neg_lo:[0,0,1] neg_hi:[0,0,1]
	v_pk_fma_f32 v[6:7], v[6:7], v[158:159], v[10:11] op_sel:[0,0,1] op_sel_hi:[1,0,0]
	v_pk_add_f32 v[76:77], v[64:65], v[20:21]
	v_pk_add_f32 v[98:99], v[64:65], v[20:21] neg_lo:[0,1] neg_hi:[0,1]
	v_pk_add_f32 v[20:21], v[16:17], v[18:19]
	v_pk_add_f32 v[92:93], v[16:17], v[18:19] neg_lo:[0,1] neg_hi:[0,1]
	v_pk_add_f32 v[16:17], v[12:13], v[14:15]
	v_pk_add_f32 v[18:19], v[12:13], v[14:15] neg_lo:[0,1] neg_hi:[0,1]
	v_pk_add_f32 v[106:107], v[4:5], v[142:143]
	v_pk_fma_f32 v[4:5], v[112:113], s[18:19], v[8:9] op_sel_hi:[1,0,1]
	v_pk_fma_f32 v[12:13], v[112:113], s[18:19], v[8:9] op_sel_hi:[1,0,1] neg_lo:[0,0,1] neg_hi:[0,0,1]
	v_pk_mul_f32 v[10:11], v[114:115], s[24:25] op_sel:[1,0] op_sel_hi:[0,0]
	v_pk_fma_f32 v[8:9], v[106:107], s[22:23], v[10:11] op_sel_hi:[1,0,1]
	v_pk_fma_f32 v[14:15], v[106:107], s[22:23], v[10:11] op_sel_hi:[1,0,1] neg_lo:[0,0,1] neg_hi:[0,0,1]
	v_mov_b32_e32 v11, v13
	v_mov_b32_e32 v13, v5
	v_pk_add_f32 v[12:13], v[12:13], v[56:57]
	v_mov_b32_e32 v5, v15
	v_mov_b32_e32 v15, v9
	v_pk_add_f32 v[60:61], v[14:15], v[12:13]
	s_mov_b32 s20, 0x3df6dbef
	v_pk_mul_f32 v[12:13], v[98:99], s[44:45] op_sel:[1,0] op_sel_hi:[0,0]
	v_pk_add_f32 v[22:23], v[62:63], v[122:123]
	v_pk_add_f32 v[96:97], v[62:63], v[122:123] neg_lo:[0,1] neg_hi:[0,1]
	v_pk_fma_f32 v[14:15], v[76:77], s[20:21], v[12:13] op_sel_hi:[1,0,1]
	v_pk_fma_f32 v[62:63], v[76:77], s[20:21], v[12:13] op_sel_hi:[1,0,1] neg_lo:[0,0,1] neg_hi:[0,0,1]
	v_pk_fma_f32 v[78:79], v[128:129], v[124:125], v[78:79] neg_lo:[0,0,1] neg_hi:[0,0,1]
	v_mov_b32_e32 v13, v63
	v_mov_b32_e32 v63, v15
	v_pk_add_f32 v[60:61], v[62:63], v[60:61]
	v_pk_mul_f32 v[62:63], v[96:97], s[30:31] op_sel:[1,0] op_sel_hi:[0,0]
	v_pk_fma_f32 v[100:101], v[22:23], s[26:27], v[62:63] op_sel_hi:[1,0,1]
	v_pk_fma_f32 v[62:63], v[22:23], s[26:27], v[62:63] op_sel_hi:[1,0,1] neg_lo:[0,0,1] neg_hi:[0,0,1]
	v_pk_mul_f32 v[66:67], v[114:115], s[38:39] op_sel:[1,0] op_sel_hi:[0,0]
	v_mov_b32_e32 v15, v63
	v_mov_b32_e32 v63, v101
	v_pk_add_f32 v[60:61], v[62:63], v[60:61]
	v_pk_mul_f32 v[62:63], v[92:93], s[40:41] op_sel:[1,0] op_sel_hi:[0,0]
	v_pk_fma_f32 v[108:109], v[20:21], s[28:29], v[62:63] op_sel_hi:[1,0,1]
	v_pk_fma_f32 v[62:63], v[20:21], s[28:29], v[62:63] op_sel_hi:[1,0,1] neg_lo:[0,0,1] neg_hi:[0,0,1]
	v_pk_fma_f32 v[68:69], v[106:107], s[18:19], v[66:67] op_sel_hi:[1,0,1]
	v_mov_b32_e32 v101, v63
	v_mov_b32_e32 v63, v109
	v_pk_add_f32 v[60:61], v[62:63], v[60:61]
	v_pk_mul_f32 v[62:63], v[18:19], s[36:37] op_sel:[1,0] op_sel_hi:[0,0]
	v_pk_fma_f32 v[124:125], v[16:17], s[34:35], v[62:63] op_sel_hi:[1,0,1]
	v_pk_fma_f32 v[62:63], v[16:17], s[34:35], v[62:63] op_sel_hi:[1,0,1] neg_lo:[0,0,1] neg_hi:[0,0,1]
	v_pk_fma_f32 v[66:67], v[106:107], s[18:19], v[66:67] op_sel_hi:[1,0,1] neg_lo:[0,0,1] neg_hi:[0,0,1]
	v_mov_b32_e32 v109, v63
	v_mov_b32_e32 v63, v125
	v_pk_add_f32 v[62:63], v[62:63], v[60:61]
	v_pk_fma_f32 v[80:81], v[140:141], v[138:139], v[80:81] neg_lo:[0,0,1] neg_hi:[0,0,1]
	v_pk_mul_f32 v[64:65], v[62:63], v[162:163] op_sel_hi:[1,0]
	v_mov_b32_e32 v10, v4
	v_pk_fma_f32 v[60:61], v[62:63], v[160:161], v[64:65] op_sel:[0,0,1] op_sel_hi:[1,1,0] neg_lo:[0,0,1] neg_hi:[0,0,1]
	v_pk_fma_f32 v[122:123], v[62:63], v[160:161], v[64:65] op_sel:[0,0,1] op_sel_hi:[1,0,0]
	v_pk_mul_f32 v[62:63], v[116:117], s[36:37] op_sel:[1,0] op_sel_hi:[0,0]
	v_pk_fma_f32 v[64:65], v[112:113], s[34:35], v[62:63] op_sel_hi:[1,0,1]
	v_pk_fma_f32 v[62:63], v[112:113], s[34:35], v[62:63] op_sel_hi:[1,0,1] neg_lo:[0,0,1] neg_hi:[0,0,1]
	v_mov_b32_e32 v70, v64
	v_mov_b32_e32 v71, v63
	;; [unrolled: 1-line block ×3, first 2 shown]
	v_pk_add_f32 v[62:63], v[62:63], v[56:57]
	v_mov_b32_e32 v65, v67
	v_mov_b32_e32 v67, v69
	v_pk_add_f32 v[62:63], v[66:67], v[62:63]
	v_pk_mul_f32 v[66:67], v[98:99], s[40:41] op_sel:[1,0] op_sel_hi:[0,0]
	v_pk_fma_f32 v[72:73], v[76:77], s[28:29], v[66:67] op_sel_hi:[1,0,1]
	v_pk_fma_f32 v[66:67], v[76:77], s[28:29], v[66:67] op_sel_hi:[1,0,1] neg_lo:[0,0,1] neg_hi:[0,0,1]
	v_mov_b32_e32 v64, v68
	v_mov_b32_e32 v69, v67
	v_mov_b32_e32 v67, v73
	v_pk_add_f32 v[62:63], v[66:67], v[62:63]
	v_pk_mul_f32 v[66:67], v[96:97], s[46:47] op_sel:[1,0] op_sel_hi:[0,0]
	v_pk_fma_f32 v[74:75], v[22:23], s[22:23], v[66:67] op_sel_hi:[1,0,1]
	v_pk_fma_f32 v[66:67], v[22:23], s[22:23], v[66:67] op_sel_hi:[1,0,1] neg_lo:[0,0,1] neg_hi:[0,0,1]
	v_mov_b32_e32 v68, v72
	;; [unrolled: 7-line block ×4, first 2 shown]
	v_mov_b32_e32 v129, v67
	v_mov_b32_e32 v67, v131
	v_pk_add_f32 v[66:67], v[66:67], v[62:63]
	v_mov_b32_e32 v128, v130
	v_pk_mul_f32 v[132:133], v[66:67], v[170:171] op_sel_hi:[1,0]
	v_mov_b32_e32 v4, v8
	v_pk_fma_f32 v[62:63], v[66:67], v[168:169], v[132:133] op_sel:[0,0,1] op_sel_hi:[1,1,0] neg_lo:[0,0,1] neg_hi:[0,0,1]
	v_pk_fma_f32 v[132:133], v[66:67], v[168:169], v[132:133] op_sel:[0,0,1] op_sel_hi:[1,0,0]
	v_pk_add_f32 v[66:67], v[70:71], v[56:57]
	v_mov_b32_e32 v12, v14
	v_pk_add_f32 v[64:65], v[64:65], v[66:67]
	v_mov_b32_e32 v14, v100
	;; [unrolled: 2-line block ×4, first 2 shown]
	v_pk_add_f32 v[64:65], v[74:75], v[64:65]
	v_or_b32_e32 v6, 64, v126
	v_pk_add_f32 v[66:67], v[128:129], v[64:65]
	v_or_b32_e32 v8, 0x50, v126
	v_pk_mul_f32 v[68:69], v[66:67], v[174:175] op_sel_hi:[1,0]
	v_mul_lo_u32 v6, v26, v6
	v_pk_fma_f32 v[64:65], v[66:67], v[172:173], v[68:69] op_sel:[0,0,1] op_sel_hi:[1,1,0] neg_lo:[0,0,1] neg_hi:[0,0,1]
	v_pk_fma_f32 v[128:129], v[66:67], v[172:173], v[68:69] op_sel:[0,0,1] op_sel_hi:[1,0,0]
	v_pk_mul_f32 v[66:67], v[116:117], s[40:41] op_sel:[1,0] op_sel_hi:[0,0]
	v_pk_fma_f32 v[70:71], v[112:113], s[28:29], v[66:67] op_sel_hi:[1,0,1]
	v_pk_fma_f32 v[66:67], v[112:113], s[28:29], v[66:67] op_sel_hi:[1,0,1] neg_lo:[0,0,1] neg_hi:[0,0,1]
	v_pk_mul_f32 v[68:69], v[114:115], s[42:43] op_sel:[1,0] op_sel_hi:[0,0]
	v_pk_fma_f32 v[72:73], v[106:107], s[20:21], v[68:69] op_sel_hi:[1,0,1]
	v_pk_fma_f32 v[68:69], v[106:107], s[20:21], v[68:69] op_sel_hi:[1,0,1] neg_lo:[0,0,1] neg_hi:[0,0,1]
	v_mov_b32_e32 v75, v67
	v_mov_b32_e32 v67, v71
	v_pk_add_f32 v[66:67], v[66:67], v[56:57]
	v_mov_b32_e32 v71, v69
	v_mov_b32_e32 v69, v73
	v_pk_add_f32 v[66:67], v[68:69], v[66:67]
	v_pk_mul_f32 v[68:69], v[98:99], s[24:25] op_sel:[1,0] op_sel_hi:[0,0]
	v_pk_fma_f32 v[130:131], v[76:77], s[22:23], v[68:69] op_sel_hi:[1,0,1]
	v_pk_fma_f32 v[68:69], v[76:77], s[22:23], v[68:69] op_sel_hi:[1,0,1] neg_lo:[0,0,1] neg_hi:[0,0,1]
	v_mov_b32_e32 v74, v70
	v_mov_b32_e32 v73, v69
	v_mov_b32_e32 v69, v131
	v_pk_add_f32 v[66:67], v[68:69], v[66:67]
	v_pk_mul_f32 v[68:69], v[96:97], s[50:51] op_sel:[1,0] op_sel_hi:[0,0]
	v_pk_fma_f32 v[138:139], v[22:23], s[34:35], v[68:69] op_sel_hi:[1,0,1]
	v_pk_fma_f32 v[68:69], v[22:23], s[34:35], v[68:69] op_sel_hi:[1,0,1] neg_lo:[0,0,1] neg_hi:[0,0,1]
	v_mov_b32_e32 v70, v72
	;; [unrolled: 7-line block ×4, first 2 shown]
	v_mov_b32_e32 v143, v69
	v_mov_b32_e32 v69, v145
	v_pk_add_f32 v[66:67], v[68:69], v[66:67]
	v_mov_b32_e32 v138, v142
	v_pk_mul_f32 v[140:141], v[66:67], v[166:167] op_sel_hi:[1,0]
	v_mov_b32_e32 v142, v144
	v_pk_fma_f32 v[68:69], v[66:67], v[164:165], v[140:141] op_sel:[0,0,1] op_sel_hi:[1,1,0] neg_lo:[0,0,1] neg_hi:[0,0,1]
	v_pk_fma_f32 v[140:141], v[66:67], v[164:165], v[140:141] op_sel:[0,0,1] op_sel_hi:[1,0,0]
	v_pk_add_f32 v[66:67], v[74:75], v[56:57]
	v_mul_lo_u32 v8, v26, v8
	v_pk_add_f32 v[66:67], v[70:71], v[66:67]
	v_mov_b32_e32 v59, v7
	v_pk_add_f32 v[66:67], v[72:73], v[66:67]
	v_lshlrev_b32_sdwa v7, v136, v6 dst_sel:DWORD dst_unused:UNUSED_PAD src0_sel:DWORD src1_sel:BYTE_0
	v_pk_add_f32 v[66:67], v[130:131], v[66:67]
	v_lshlrev_b32_sdwa v6, v136, v6 dst_sel:DWORD dst_unused:UNUSED_PAD src0_sel:DWORD src1_sel:BYTE_1
	v_pk_add_f32 v[66:67], v[138:139], v[66:67]
	v_lshlrev_b32_sdwa v9, v136, v8 dst_sel:DWORD dst_unused:UNUSED_PAD src0_sel:DWORD src1_sel:BYTE_0
	v_pk_add_f32 v[70:71], v[142:143], v[66:67]
	v_lshlrev_b32_sdwa v8, v136, v8 dst_sel:DWORD dst_unused:UNUSED_PAD src0_sel:DWORD src1_sel:BYTE_1
	v_pk_mul_f32 v[72:73], v[70:71], v[178:179] op_sel_hi:[1,0]
	v_mov_b32_e32 v61, v123
	v_pk_fma_f32 v[66:67], v[70:71], v[176:177], v[72:73] op_sel:[0,0,1] op_sel_hi:[1,1,0] neg_lo:[0,0,1] neg_hi:[0,0,1]
	v_pk_fma_f32 v[142:143], v[70:71], v[176:177], v[72:73] op_sel:[0,0,1] op_sel_hi:[1,0,0]
	v_pk_mul_f32 v[70:71], v[116:117], s[30:31] op_sel:[1,0] op_sel_hi:[0,0]
	v_pk_fma_f32 v[74:75], v[112:113], s[26:27], v[70:71] op_sel_hi:[1,0,1]
	v_pk_fma_f32 v[70:71], v[112:113], s[26:27], v[70:71] op_sel_hi:[1,0,1] neg_lo:[0,0,1] neg_hi:[0,0,1]
	v_pk_mul_f32 v[72:73], v[114:115], s[48:49] op_sel:[1,0] op_sel_hi:[0,0]
	v_pk_fma_f32 v[130:131], v[106:107], s[28:29], v[72:73] op_sel_hi:[1,0,1]
	v_pk_fma_f32 v[72:73], v[106:107], s[28:29], v[72:73] op_sel_hi:[1,0,1] neg_lo:[0,0,1] neg_hi:[0,0,1]
	v_mov_b32_e32 v139, v71
	v_mov_b32_e32 v71, v75
	v_pk_add_f32 v[70:71], v[70:71], v[56:57]
	v_mov_b32_e32 v75, v73
	v_mov_b32_e32 v73, v131
	v_pk_add_f32 v[70:71], v[72:73], v[70:71]
	v_pk_mul_f32 v[72:73], v[98:99], s[38:39] op_sel:[1,0] op_sel_hi:[0,0]
	v_pk_fma_f32 v[158:159], v[76:77], s[18:19], v[72:73] op_sel_hi:[1,0,1]
	v_pk_fma_f32 v[72:73], v[76:77], s[18:19], v[72:73] op_sel_hi:[1,0,1] neg_lo:[0,0,1] neg_hi:[0,0,1]
	v_mov_b32_e32 v138, v74
	v_mov_b32_e32 v131, v73
	v_mov_b32_e32 v73, v159
	v_pk_add_f32 v[70:71], v[72:73], v[70:71]
	v_pk_mul_f32 v[72:73], v[96:97], s[44:45] op_sel:[1,0] op_sel_hi:[0,0]
	v_pk_fma_f32 v[160:161], v[22:23], s[20:21], v[72:73] op_sel_hi:[1,0,1]
	v_pk_fma_f32 v[72:73], v[22:23], s[20:21], v[72:73] op_sel_hi:[1,0,1] neg_lo:[0,0,1] neg_hi:[0,0,1]
	v_mov_b32_e32 v74, v130
	;; [unrolled: 7-line block ×4, first 2 shown]
	v_mov_b32_e32 v163, v73
	v_mov_b32_e32 v73, v165
	v_pk_add_f32 v[70:71], v[72:73], v[70:71]
	v_mov_b32_e32 v160, v162
	v_pk_mul_f32 v[104:105], v[70:71], v[104:105] op_sel_hi:[1,0]
	v_mov_b32_e32 v162, v164
	v_pk_fma_f32 v[72:73], v[70:71], v[94:95], v[104:105] op_sel:[0,0,1] op_sel_hi:[1,1,0] neg_lo:[0,0,1] neg_hi:[0,0,1]
	v_pk_fma_f32 v[144:145], v[70:71], v[94:95], v[104:105] op_sel:[0,0,1] op_sel_hi:[1,0,0]
	v_pk_add_f32 v[70:71], v[138:139], v[56:57]
	v_pk_mul_f32 v[104:105], v[114:115], s[36:37] op_sel:[1,0] op_sel_hi:[0,0]
	v_pk_add_f32 v[70:71], v[74:75], v[70:71]
	v_mul_u32_u24_e32 v67, 12, v126
	v_pk_add_f32 v[70:71], v[130:131], v[70:71]
	v_pk_fma_f32 v[130:131], v[106:107], s[34:35], v[104:105] op_sel_hi:[1,0,1]
	v_pk_add_f32 v[70:71], v[158:159], v[70:71]
	v_pk_fma_f32 v[104:105], v[106:107], s[34:35], v[104:105] op_sel_hi:[1,0,1] neg_lo:[0,0,1] neg_hi:[0,0,1]
	v_pk_add_f32 v[70:71], v[160:161], v[70:71]
	v_mov_b32_e32 v63, v133
	v_pk_add_f32 v[74:75], v[162:163], v[70:71]
	v_mov_b32_e32 v65, v129
	v_pk_mul_f32 v[94:95], v[74:75], v[134:135] op_sel_hi:[1,0]
	v_lshlrev_b32_e32 v67, 3, v67
	v_pk_fma_f32 v[70:71], v[74:75], v[110:111], v[94:95] op_sel:[0,0,1] op_sel_hi:[1,1,0] neg_lo:[0,0,1] neg_hi:[0,0,1]
	v_pk_fma_f32 v[158:159], v[74:75], v[110:111], v[94:95] op_sel:[0,0,1] op_sel_hi:[1,0,0]
	v_pk_mul_f32 v[74:75], v[116:117], s[44:45] op_sel:[1,0] op_sel_hi:[0,0]
	v_pk_fma_f32 v[94:95], v[112:113], s[20:21], v[74:75] op_sel_hi:[1,0,1]
	v_pk_fma_f32 v[74:75], v[112:113], s[20:21], v[74:75] op_sel_hi:[1,0,1] neg_lo:[0,0,1] neg_hi:[0,0,1]
	s_mov_b32 s44, 0x3f6f5d39
	v_mov_b32_e32 v135, v75
	v_mov_b32_e32 v75, v95
	v_pk_add_f32 v[74:75], v[74:75], v[56:57]
	v_mov_b32_e32 v95, v105
	v_mov_b32_e32 v105, v131
	v_pk_add_f32 v[74:75], v[104:105], v[74:75]
	v_pk_mul_f32 v[104:105], v[98:99], s[44:45] op_sel:[1,0] op_sel_hi:[0,0]
	v_pk_fma_f32 v[138:139], v[76:77], s[26:27], v[104:105] op_sel_hi:[1,0,1]
	v_pk_fma_f32 v[104:105], v[76:77], s[26:27], v[104:105] op_sel_hi:[1,0,1] neg_lo:[0,0,1] neg_hi:[0,0,1]
	v_mov_b32_e32 v134, v94
	v_mov_b32_e32 v131, v105
	v_mov_b32_e32 v105, v139
	v_pk_add_f32 v[74:75], v[104:105], v[74:75]
	v_pk_mul_f32 v[104:105], v[96:97], s[38:39] op_sel:[1,0] op_sel_hi:[0,0]
	v_pk_fma_f32 v[160:161], v[22:23], s[18:19], v[104:105] op_sel_hi:[1,0,1]
	v_pk_fma_f32 v[104:105], v[22:23], s[18:19], v[104:105] op_sel_hi:[1,0,1] neg_lo:[0,0,1] neg_hi:[0,0,1]
	v_mov_b32_e32 v94, v130
	v_mov_b32_e32 v139, v105
	v_mov_b32_e32 v105, v161
	v_pk_add_f32 v[74:75], v[104:105], v[74:75]
	v_pk_mul_f32 v[104:105], v[92:93], s[24:25] op_sel:[1,0] op_sel_hi:[0,0]
	v_pk_fma_f32 v[162:163], v[20:21], s[22:23], v[104:105] op_sel_hi:[1,0,1]
	v_pk_fma_f32 v[104:105], v[20:21], s[22:23], v[104:105] op_sel_hi:[1,0,1] neg_lo:[0,0,1] neg_hi:[0,0,1]
	v_mov_b32_e32 v130, v138
	v_mov_b32_e32 v161, v105
	v_mov_b32_e32 v105, v163
	v_pk_add_f32 v[74:75], v[104:105], v[74:75]
	v_pk_mul_f32 v[104:105], v[18:19], s[40:41] op_sel:[1,0] op_sel_hi:[0,0]
	v_pk_fma_f32 v[164:165], v[16:17], s[28:29], v[104:105] op_sel_hi:[1,0,1]
	v_pk_fma_f32 v[104:105], v[16:17], s[28:29], v[104:105] op_sel_hi:[1,0,1] neg_lo:[0,0,1] neg_hi:[0,0,1]
	v_mov_b32_e32 v138, v160
	v_mov_b32_e32 v163, v105
	v_mov_b32_e32 v105, v165
	v_pk_add_f32 v[74:75], v[104:105], v[74:75]
	v_mov_b32_e32 v160, v162
	v_pk_mul_f32 v[90:91], v[74:75], v[90:91] op_sel_hi:[1,0]
	v_mov_b32_e32 v162, v164
	v_pk_fma_f32 v[110:111], v[74:75], v[102:103], v[90:91] op_sel:[0,0,1] op_sel_hi:[1,1,0] neg_lo:[0,0,1] neg_hi:[0,0,1]
	v_pk_fma_f32 v[166:167], v[74:75], v[102:103], v[90:91] op_sel:[0,0,1] op_sel_hi:[1,0,0]
	v_pk_add_f32 v[74:75], v[134:135], v[56:57]
	v_pk_mul_f32 v[18:19], v[18:19], s[38:39] op_sel:[1,0] op_sel_hi:[0,0]
	v_pk_add_f32 v[74:75], v[94:95], v[74:75]
	v_pk_fma_f32 v[174:175], v[16:17], s[18:19], v[18:19] op_sel_hi:[1,0,1]
	v_pk_add_f32 v[74:75], v[130:131], v[74:75]
	v_pk_fma_f32 v[16:17], v[16:17], s[18:19], v[18:19] op_sel_hi:[1,0,1] neg_lo:[0,0,1] neg_hi:[0,0,1]
	v_pk_add_f32 v[74:75], v[138:139], v[74:75]
	v_mov_b32_e32 v69, v141
	v_pk_add_f32 v[74:75], v[160:161], v[74:75]
	v_mov_b32_e32 v73, v145
	v_pk_add_f32 v[90:91], v[162:163], v[74:75]
	v_mov_b32_e32 v71, v159
	v_pk_mul_f32 v[88:89], v[90:91], v[88:89] op_sel_hi:[1,0]
	v_mov_b32_e32 v111, v167
	v_pk_fma_f32 v[74:75], v[90:91], v[86:87], v[88:89] op_sel:[0,0,1] op_sel_hi:[1,1,0] neg_lo:[0,0,1] neg_hi:[0,0,1]
	v_pk_fma_f32 v[160:161], v[90:91], v[86:87], v[88:89] op_sel:[0,0,1] op_sel_hi:[1,0,0]
	v_pk_mul_f32 v[86:87], v[116:117], s[24:25] op_sel:[1,0] op_sel_hi:[0,0]
	v_pk_fma_f32 v[162:163], v[112:113], s[22:23], v[86:87] op_sel_hi:[1,0,1]
	v_pk_fma_f32 v[86:87], v[112:113], s[22:23], v[86:87] op_sel_hi:[1,0,1] neg_lo:[0,0,1] neg_hi:[0,0,1]
	v_pk_mul_f32 v[88:89], v[114:115], s[30:31] op_sel:[1,0] op_sel_hi:[0,0]
	v_pk_fma_f32 v[164:165], v[106:107], s[26:27], v[88:89] op_sel_hi:[1,0,1]
	v_pk_fma_f32 v[88:89], v[106:107], s[26:27], v[88:89] op_sel_hi:[1,0,1] neg_lo:[0,0,1] neg_hi:[0,0,1]
	v_pk_mul_f32 v[90:91], v[98:99], s[36:37] op_sel:[1,0] op_sel_hi:[0,0]
	v_mov_b32_e32 v177, v87
	v_mov_b32_e32 v87, v163
	v_pk_fma_f32 v[168:169], v[76:77], s[34:35], v[90:91] op_sel_hi:[1,0,1]
	v_pk_fma_f32 v[76:77], v[76:77], s[34:35], v[90:91] op_sel_hi:[1,0,1] neg_lo:[0,0,1] neg_hi:[0,0,1]
	v_pk_mul_f32 v[90:91], v[96:97], s[48:49] op_sel:[1,0] op_sel_hi:[0,0]
	v_pk_add_f32 v[18:19], v[86:87], v[56:57]
	v_mov_b32_e32 v163, v89
	v_mov_b32_e32 v89, v165
	v_pk_fma_f32 v[170:171], v[22:23], s[28:29], v[90:91] op_sel_hi:[1,0,1]
	v_pk_fma_f32 v[22:23], v[22:23], s[28:29], v[90:91] op_sel_hi:[1,0,1] neg_lo:[0,0,1] neg_hi:[0,0,1]
	v_pk_mul_f32 v[90:91], v[92:93], s[42:43] op_sel:[1,0] op_sel_hi:[0,0]
	v_pk_add_f32 v[18:19], v[88:89], v[18:19]
	v_mov_b32_e32 v165, v77
	v_mov_b32_e32 v77, v169
	v_pk_fma_f32 v[172:173], v[20:21], s[20:21], v[90:91] op_sel_hi:[1,0,1]
	v_pk_fma_f32 v[20:21], v[20:21], s[20:21], v[90:91] op_sel_hi:[1,0,1] neg_lo:[0,0,1] neg_hi:[0,0,1]
	v_pk_add_f32 v[18:19], v[76:77], v[18:19]
	v_mov_b32_e32 v169, v23
	v_mov_b32_e32 v23, v171
	v_pk_add_f32 v[18:19], v[22:23], v[18:19]
	v_mov_b32_e32 v171, v21
	v_mov_b32_e32 v21, v173
	;; [unrolled: 3-line block ×3, first 2 shown]
	v_pk_add_f32 v[16:17], v[16:17], v[18:19]
	v_or_b32_e32 v18, 0xa0, v126
	v_pk_mul_f32 v[2:3], v[16:17], v[2:3] op_sel_hi:[1,0]
	v_or_b32_e32 v20, 0xb0, v126
	v_pk_fma_f32 v[138:139], v[16:17], v[0:1], v[2:3] op_sel:[0,0,1] op_sel_hi:[1,1,0] neg_lo:[0,0,1] neg_hi:[0,0,1]
	v_pk_fma_f32 v[178:179], v[16:17], v[0:1], v[2:3] op_sel:[0,0,1] op_sel_hi:[1,0,0]
	v_pk_add_f32 v[0:1], v[10:11], v[56:57]
	v_or_b32_e32 v2, 32, v126
	v_pk_add_f32 v[0:1], v[4:5], v[0:1]
	v_or_b32_e32 v4, 48, v126
	;; [unrolled: 2-line block ×6, first 2 shown]
	v_or_b32_e32 v16, 0x90, v126
	v_or_b32_e32 v22, 0xc0, v126
	v_mul_lo_u32 v0, v26, v0
	v_mul_lo_u32 v2, v26, v2
	;; [unrolled: 1-line block ×10, first 2 shown]
	v_lshlrev_b32_sdwa v1, v136, v0 dst_sel:DWORD dst_unused:UNUSED_PAD src0_sel:DWORD src1_sel:BYTE_0
	v_lshlrev_b32_sdwa v0, v136, v0 dst_sel:DWORD dst_unused:UNUSED_PAD src0_sel:DWORD src1_sel:BYTE_1
	v_lshlrev_b32_sdwa v3, v136, v2 dst_sel:DWORD dst_unused:UNUSED_PAD src0_sel:DWORD src1_sel:BYTE_0
	v_lshlrev_b32_sdwa v2, v136, v2 dst_sel:DWORD dst_unused:UNUSED_PAD src0_sel:DWORD src1_sel:BYTE_1
	;; [unrolled: 2-line block ×10, first 2 shown]
	global_load_dwordx2 v[134:135], v1, s[0:1]
	global_load_dwordx2 v[136:137], v0, s[0:1] offset:2048
	global_load_dwordx2 v[128:129], v3, s[0:1]
	global_load_dwordx2 v[130:131], v2, s[0:1] offset:2048
	global_load_dwordx2 v[122:123], v5, s[0:1]
                                        ; kill: killed $vgpr0
                                        ; kill: killed $vgpr5
                                        ; kill: killed $vgpr2
                                        ; kill: killed $vgpr3
	global_load_dwordx2 v[132:133], v4, s[0:1] offset:2048
	global_load_dwordx2 v[124:125], v7, s[0:1]
                                        ; kill: killed $vgpr4
                                        ; kill: killed $vgpr7
	global_load_dwordx2 v[126:127], v6, s[0:1] offset:2048
	global_load_dwordx2 v[114:115], v9, s[0:1]
	global_load_dwordx2 v[116:117], v8, s[0:1] offset:2048
	global_load_dwordx2 v[108:109], v11, s[0:1]
	;; [unrolled: 2-line block ×8, first 2 shown]
	global_load_dwordx2 v[86:87], v22, s[0:1] offset:2048
	global_load_dwordx4 v[8:11], v67, s[16:17] offset:160
	global_load_dwordx4 v[12:15], v67, s[16:17] offset:144
	;; [unrolled: 1-line block ×3, first 2 shown]
	s_nop 0
	global_load_dwordx4 v[20:23], v67, s[16:17] offset:112
	global_load_dwordx4 v[0:3], v67, s[16:17] offset:192
	;; [unrolled: 1-line block ×3, first 2 shown]
	v_mov_b32_e32 v176, v162
	v_pk_add_f32 v[56:57], v[176:177], v[56:57]
	v_mov_b32_e32 v162, v164
	v_pk_add_f32 v[56:57], v[162:163], v[56:57]
	;; [unrolled: 2-line block ×6, first 2 shown]
	v_mov_b32_e32 v67, v143
	v_pk_mul_f32 v[140:141], v[56:57], v[82:83] op_sel_hi:[1,0]
	v_mov_b32_e32 v75, v161
	v_pk_fma_f32 v[82:83], v[56:57], v[78:79], v[140:141] op_sel:[0,0,1] op_sel_hi:[1,1,0] neg_lo:[0,0,1] neg_hi:[0,0,1]
	v_pk_fma_f32 v[56:57], v[56:57], v[78:79], v[140:141] op_sel:[0,0,1] op_sel_hi:[1,0,0]
	v_mov_b32_e32 v139, v179
	v_mov_b32_e32 v83, v57
	v_pk_mul_f32 v[56:57], v[180:181], v[84:85] op_sel_hi:[1,0]
	s_nop 0
	v_pk_fma_f32 v[78:79], v[180:181], v[80:81], v[56:57] op_sel:[0,0,1] op_sel_hi:[1,1,0] neg_lo:[0,0,1] neg_hi:[0,0,1]
	v_pk_fma_f32 v[56:57], v[180:181], v[80:81], v[56:57] op_sel:[0,0,1] op_sel_hi:[1,0,0]
	s_nop 0
	v_mov_b32_e32 v79, v57
	s_cbranch_vccnz .LBB0_18
; %bb.17:
	v_mad_u64_u32 v[56:57], s[0:1], s12, v24, 0
	v_mov_b32_e32 v80, v57
	v_mad_u64_u32 v[80:81], s[0:1], s13, v24, v[80:81]
	v_mov_b32_e32 v57, v80
	;; [unrolled: 2-line block ×3, first 2 shown]
	v_mad_u64_u32 v[84:85], s[0:1], s9, v146, v[84:85]
	s_lshl_b64 s[0:1], s[6:7], 3
	s_add_u32 s0, s14, s0
	s_addc_u32 s1, s15, s1
	v_mov_b32_e32 v81, v84
	v_lshl_add_u64 v[56:57], v[56:57], 3, s[0:1]
	v_lshl_add_u64 v[80:81], v[80:81], 3, v[56:57]
	global_store_dwordx2 v[80:81], v[58:59], off
	v_mad_u64_u32 v[80:81], s[0:1], s8, v25, 0
	v_mov_b32_e32 v84, v81
	v_mad_u64_u32 v[84:85], s[0:1], s9, v25, v[84:85]
	v_mov_b32_e32 v81, v84
	v_lshl_add_u64 v[80:81], v[80:81], 3, v[56:57]
	global_store_dwordx2 v[80:81], v[60:61], off
	v_mad_u64_u32 v[80:81], s[0:1], s8, v55, 0
	v_mov_b32_e32 v84, v81
	v_mad_u64_u32 v[84:85], s[0:1], s9, v55, v[84:85]
	v_mov_b32_e32 v81, v84
	;; [unrolled: 6-line block ×12, first 2 shown]
	v_lshl_add_u64 v[80:81], v[80:81], 3, v[56:57]
	s_and_b64 s[0:1], s[2:3], exec
	global_store_dwordx2 v[80:81], v[78:79], off
	s_cbranch_execz .LBB0_19
	s_branch .LBB0_22
.LBB0_18:
	s_mov_b64 s[0:1], 0
                                        ; implicit-def: $vgpr56_vgpr57
.LBB0_19:
	v_cmp_gt_u64_e32 vcc, s[10:11], v[26:27]
                                        ; implicit-def: $vgpr56_vgpr57
	s_and_saveexec_b64 s[4:5], vcc
	s_cbranch_execz .LBB0_21
; %bb.20:
	v_mad_u64_u32 v[26:27], s[10:11], s12, v24, 0
	v_mov_b32_e32 v56, v27
	v_mad_u64_u32 v[80:81], s[10:11], s8, v146, 0
	s_lshl_b64 s[6:7], s[6:7], 3
	v_mad_u64_u32 v[56:57], s[10:11], s13, v24, v[56:57]
	v_mov_b32_e32 v24, v81
	s_add_u32 s6, s14, s6
	v_mov_b32_e32 v27, v56
	v_mad_u64_u32 v[56:57], s[10:11], s9, v146, v[24:25]
	s_addc_u32 s7, s15, s7
	v_mov_b32_e32 v81, v56
	v_lshl_add_u64 v[56:57], v[26:27], 3, s[6:7]
	v_lshl_add_u64 v[26:27], v[80:81], 3, v[56:57]
	global_store_dwordx2 v[26:27], v[58:59], off
	v_mad_u64_u32 v[26:27], s[6:7], s8, v25, 0
	v_mov_b32_e32 v24, v27
	v_mad_u64_u32 v[24:25], s[6:7], s9, v25, v[24:25]
	v_mov_b32_e32 v27, v24
	v_lshl_add_u64 v[24:25], v[26:27], 3, v[56:57]
	global_store_dwordx2 v[24:25], v[60:61], off
	v_mad_u64_u32 v[24:25], s[6:7], s8, v55, 0
	v_mov_b32_e32 v26, v25
	v_mad_u64_u32 v[26:27], s[6:7], s9, v55, v[26:27]
	v_mov_b32_e32 v25, v26
	;; [unrolled: 6-line block ×4, first 2 shown]
	v_lshl_add_u64 v[24:25], v[24:25], 3, v[56:57]
	v_or_b32_e32 v27, 0x50, v146
	global_store_dwordx2 v[24:25], v[72:73], off
	v_mad_u64_u32 v[24:25], s[6:7], s8, v27, 0
	v_mov_b32_e32 v26, v25
	v_mad_u64_u32 v[26:27], s[6:7], s9, v27, v[26:27]
	v_mov_b32_e32 v25, v26
	v_lshl_add_u64 v[24:25], v[24:25], 3, v[56:57]
	v_or_b32_e32 v27, 0x60, v146
	global_store_dwordx2 v[24:25], v[68:69], off
	v_mad_u64_u32 v[24:25], s[6:7], s8, v27, 0
	v_mov_b32_e32 v26, v25
	v_mad_u64_u32 v[26:27], s[6:7], s9, v27, v[26:27]
	v_mov_b32_e32 v25, v26
	;; [unrolled: 7-line block ×8, first 2 shown]
	s_andn2_b64 s[0:1], s[0:1], exec
	s_and_b64 s[2:3], s[2:3], exec
	v_lshl_add_u64 v[24:25], v[24:25], 3, v[56:57]
	s_or_b64 s[0:1], s[0:1], s[2:3]
	global_store_dwordx2 v[24:25], v[78:79], off
.LBB0_21:
	s_or_b64 exec, exec, s[4:5]
.LBB0_22:
	s_and_saveexec_b64 s[2:3], s[0:1]
	s_cbranch_execnz .LBB0_24
; %bb.23:
	s_endpgm
.LBB0_24:
	s_waitcnt vmcnt(2)
	v_mul_f32_e32 v24, v51, v21
	v_fma_f32 v138, v50, v20, -v24
	v_mul_f32_e32 v139, v50, v21
	v_mov_b32_e32 v24, v133
	v_fmac_f32_e32 v139, v51, v20
	v_mul_f32_e32 v20, v53, v23
	v_pk_mul_f32 v[24:25], v[122:123], v[24:25] op_sel:[1,0] op_sel_hi:[0,1]
	v_fma_f32 v140, v54, v22, -v20
	v_mul_f32_e32 v141, v54, v23
	v_pk_fma_f32 v[54:55], v[122:123], v[132:133], v[24:25] neg_lo:[0,0,1] neg_hi:[0,0,1]
	v_pk_mul_f32 v[24:25], v[122:123], v[132:133] op_sel:[1,0] op_sel_hi:[0,1]
	v_mov_b32_e32 v24, v25
	v_pk_fma_f32 v[58:59], v[122:123], v[132:133], v[24:25] op_sel:[1,0,0] op_sel_hi:[0,1,1]
	v_mov_b32_e32 v24, v127
	v_pk_mul_f32 v[26:27], v[88:89], v[90:91] op_sel:[1,0] op_sel_hi:[0,1]
	v_pk_mul_f32 v[24:25], v[124:125], v[24:25] op_sel:[1,0] op_sel_hi:[0,1]
	v_mov_b32_e32 v26, v27
	v_fmac_f32_e32 v141, v53, v22
	v_pk_fma_f32 v[64:65], v[124:125], v[126:127], v[24:25] neg_lo:[0,0,1] neg_hi:[0,0,1]
	v_pk_mul_f32 v[24:25], v[124:125], v[126:127] op_sel:[1,0] op_sel_hi:[0,1]
	v_pk_fma_f32 v[50:51], v[88:89], v[90:91], v[26:27] op_sel:[1,0,0] op_sel_hi:[0,1,1]
	v_mov_b32_e32 v26, v87
	v_pk_mul_f32 v[52:53], v[76:77], v[86:87] op_sel:[1,0] op_sel_hi:[0,1]
	v_mov_b32_e32 v24, v25
	v_pk_mul_f32 v[26:27], v[76:77], v[26:27] op_sel:[1,0] op_sel_hi:[0,1]
	v_mov_b32_e32 v52, v53
	v_pk_fma_f32 v[66:67], v[124:125], v[126:127], v[24:25] op_sel:[1,0,0] op_sel_hi:[0,1,1]
	v_mov_b32_e32 v24, v117
	v_pk_fma_f32 v[26:27], v[76:77], v[86:87], v[26:27] neg_lo:[0,0,1] neg_hi:[0,0,1]
	v_pk_fma_f32 v[52:53], v[76:77], v[86:87], v[52:53] op_sel:[1,0,0] op_sel_hi:[0,1,1]
	v_mov_b32_e32 v76, v49
	v_mov_b32_e32 v86, v17
	;; [unrolled: 1-line block ×3, first 2 shown]
	v_pk_mul_f32 v[24:25], v[114:115], v[24:25] op_sel:[1,0] op_sel_hi:[0,1]
	v_pk_mul_f32 v[76:77], v[76:77], v[86:87] op_sel_hi:[0,1]
	v_pk_fma_f32 v[72:73], v[114:115], v[116:117], v[24:25] neg_lo:[0,0,1] neg_hi:[0,0,1]
	v_pk_mul_f32 v[24:25], v[114:115], v[116:117] op_sel:[1,0] op_sel_hi:[0,1]
	v_pk_fma_f32 v[86:87], v[48:49], v[16:17], v[76:77] op_sel_hi:[0,1,1] neg_lo:[0,0,1] neg_hi:[0,0,1]
	v_pk_fma_f32 v[16:17], v[48:49], v[16:17], v[76:77] op_sel_hi:[0,1,1]
	v_mov_b32_e32 v24, v25
	v_mov_b32_e32 v16, v45
	v_pk_fma_f32 v[74:75], v[114:115], v[116:117], v[24:25] op_sel:[1,0,0] op_sel_hi:[0,1,1]
	v_mov_b32_e32 v24, v113
	v_pk_mul_f32 v[48:49], v[16:17], v[18:19] op_sel_hi:[0,1]
	v_pk_mul_f32 v[24:25], v[108:109], v[24:25] op_sel:[1,0] op_sel_hi:[0,1]
	v_pk_fma_f32 v[76:77], v[44:45], v[18:19], v[48:49] op_sel:[0,0,1] op_sel_hi:[1,1,0] neg_lo:[0,0,1] neg_hi:[0,0,1]
	v_pk_fma_f32 v[18:19], v[44:45], v[18:19], v[48:49] op_sel:[0,0,1] op_sel_hi:[0,1,0]
	v_mov_b32_e32 v16, v43
	v_pk_fma_f32 v[82:83], v[108:109], v[112:113], v[24:25] neg_lo:[0,0,1] neg_hi:[0,0,1]
	v_pk_mul_f32 v[24:25], v[108:109], v[112:113] op_sel:[1,0] op_sel_hi:[0,1]
	v_mov_b32_e32 v77, v19
	v_pk_mul_f32 v[18:19], v[16:17], v[12:13] op_sel_hi:[0,1]
	v_mov_b32_e32 v24, v25
	v_pk_fma_f32 v[44:45], v[42:43], v[12:13], v[18:19] op_sel:[0,0,1] op_sel_hi:[1,1,0] neg_lo:[0,0,1] neg_hi:[0,0,1]
	v_pk_fma_f32 v[12:13], v[42:43], v[12:13], v[18:19] op_sel:[0,0,1] op_sel_hi:[0,1,0]
	v_pk_fma_f32 v[108:109], v[108:109], v[112:113], v[24:25] op_sel:[1,0,0] op_sel_hi:[0,1,1]
	v_mov_b32_e32 v24, v107
	v_mov_b32_e32 v12, v39
	v_pk_mul_f32 v[24:25], v[104:105], v[24:25] op_sel:[1,0] op_sel_hi:[0,1]
	v_mov_b32_e32 v45, v13
	v_pk_mul_f32 v[12:13], v[12:13], v[14:15] op_sel_hi:[0,1]
	v_pk_fma_f32 v[84:85], v[104:105], v[106:107], v[24:25] neg_lo:[0,0,1] neg_hi:[0,0,1]
	v_pk_mul_f32 v[24:25], v[104:105], v[106:107] op_sel:[1,0] op_sel_hi:[0,1]
	v_pk_fma_f32 v[42:43], v[38:39], v[14:15], v[12:13] op_sel:[0,0,1] op_sel_hi:[1,1,0] neg_lo:[0,0,1] neg_hi:[0,0,1]
	v_pk_fma_f32 v[12:13], v[38:39], v[14:15], v[12:13] op_sel:[0,0,1] op_sel_hi:[0,1,0]
	v_mov_b32_e32 v24, v25
	v_mov_b32_e32 v12, v47
	v_pk_fma_f32 v[104:105], v[104:105], v[106:107], v[24:25] op_sel:[1,0,0] op_sel_hi:[0,1,1]
	v_mov_b32_e32 v24, v103
	v_mov_b32_e32 v43, v13
	v_pk_mul_f32 v[12:13], v[12:13], v[8:9] op_sel_hi:[0,1]
	v_pk_mul_f32 v[24:25], v[100:101], v[24:25] op_sel:[1,0] op_sel_hi:[0,1]
	v_pk_fma_f32 v[38:39], v[46:47], v[8:9], v[12:13] op_sel:[0,0,1] op_sel_hi:[1,1,0] neg_lo:[0,0,1] neg_hi:[0,0,1]
	v_pk_fma_f32 v[8:9], v[46:47], v[8:9], v[12:13] op_sel:[0,0,1] op_sel_hi:[0,1,0]
	v_pk_fma_f32 v[78:79], v[100:101], v[102:103], v[24:25] neg_lo:[0,0,1] neg_hi:[0,0,1]
	v_pk_mul_f32 v[24:25], v[100:101], v[102:103] op_sel:[1,0] op_sel_hi:[0,1]
	v_mov_b32_e32 v8, v41
	v_mov_b32_e32 v24, v25
	;; [unrolled: 1-line block ×3, first 2 shown]
	v_pk_mul_f32 v[8:9], v[8:9], v[10:11] op_sel_hi:[0,1]
	v_pk_fma_f32 v[80:81], v[100:101], v[102:103], v[24:25] op_sel:[1,0,0] op_sel_hi:[0,1,1]
	v_mov_b32_e32 v24, v99
	v_pk_fma_f32 v[46:47], v[40:41], v[10:11], v[8:9] op_sel:[0,0,1] op_sel_hi:[1,1,0] neg_lo:[0,0,1] neg_hi:[0,0,1]
	v_pk_fma_f32 v[8:9], v[40:41], v[10:11], v[8:9] op_sel:[0,0,1] op_sel_hi:[0,1,0]
	v_pk_mul_f32 v[24:25], v[96:97], v[24:25] op_sel:[1,0] op_sel_hi:[0,1]
	v_mov_b32_e32 v8, v37
	v_pk_fma_f32 v[68:69], v[96:97], v[98:99], v[24:25] neg_lo:[0,0,1] neg_hi:[0,0,1]
	v_pk_mul_f32 v[24:25], v[96:97], v[98:99] op_sel:[1,0] op_sel_hi:[0,1]
	v_mov_b32_e32 v47, v9
	s_waitcnt vmcnt(0)
	v_pk_mul_f32 v[8:9], v[8:9], v[4:5] op_sel_hi:[0,1]
	v_mov_b32_e32 v24, v25
	v_pk_fma_f32 v[40:41], v[36:37], v[4:5], v[8:9] op_sel:[0,0,1] op_sel_hi:[1,1,0] neg_lo:[0,0,1] neg_hi:[0,0,1]
	v_pk_fma_f32 v[4:5], v[36:37], v[4:5], v[8:9] op_sel:[0,0,1] op_sel_hi:[0,1,0]
	v_pk_fma_f32 v[70:71], v[96:97], v[98:99], v[24:25] op_sel:[1,0,0] op_sel_hi:[0,1,1]
	v_mov_b32_e32 v24, v95
	v_mov_b32_e32 v4, v35
	v_mov_b32_e32 v8, v7
	v_mov_b32_e32 v9, v6
	v_pk_mul_f32 v[24:25], v[92:93], v[24:25] op_sel:[1,0] op_sel_hi:[0,1]
	v_mov_b32_e32 v41, v5
	v_pk_mul_f32 v[4:5], v[4:5], v[8:9] op_sel_hi:[0,1]
	v_pk_fma_f32 v[60:61], v[92:93], v[94:95], v[24:25] neg_lo:[0,0,1] neg_hi:[0,0,1]
	v_pk_mul_f32 v[24:25], v[92:93], v[94:95] op_sel:[1,0] op_sel_hi:[0,1]
	v_pk_fma_f32 v[36:37], v[34:35], v[6:7], v[4:5] neg_lo:[0,0,1] neg_hi:[0,0,1]
	v_pk_fma_f32 v[4:5], v[34:35], v[6:7], v[4:5] op_sel_hi:[0,1,1]
	v_mov_b32_e32 v24, v25
	v_mov_b32_e32 v87, v17
	;; [unrolled: 1-line block ×3, first 2 shown]
	v_add_f32_e32 v20, v28, v138
	v_pk_fma_f32 v[62:63], v[92:93], v[94:95], v[24:25] op_sel:[1,0,0] op_sel_hi:[0,1,1]
	v_mov_b32_e32 v24, v91
	v_pk_add_f32 v[6:7], v[86:87], v[36:37] neg_lo:[0,1] neg_hi:[0,1]
	s_mov_b32 s18, 0xbf7e222b
	v_add_f32_e32 v21, v29, v139
	v_add_f32_e32 v144, v20, v140
	v_pk_mul_f32 v[24:25], v[88:89], v[24:25] op_sel:[1,0] op_sel_hi:[0,1]
	v_pk_add_f32 v[4:5], v[86:87], v[36:37]
	s_mov_b32 s0, 0x3df6dbef
	v_pk_mul_f32 v[8:9], v[6:7], s[18:19] op_sel:[1,0] op_sel_hi:[0,0]
	v_pk_add_f32 v[10:11], v[76:77], v[40:41] neg_lo:[0,1] neg_hi:[0,1]
	s_mov_b32 s6, 0xbf6f5d39
	v_add_f32_e32 v145, v21, v141
	v_pk_fma_f32 v[24:25], v[88:89], v[90:91], v[24:25] neg_lo:[0,0,1] neg_hi:[0,0,1]
	v_add_f32_e32 v34, v144, v86
	v_pk_fma_f32 v[86:87], v[4:5], s[0:1], v[8:9] op_sel_hi:[1,0,1]
	v_pk_fma_f32 v[88:89], v[4:5], s[0:1], v[8:9] op_sel_hi:[1,0,1] neg_lo:[0,0,1] neg_hi:[0,0,1]
	v_pk_add_f32 v[8:9], v[76:77], v[40:41]
	s_mov_b32 s4, 0xbeb58ec6
	v_pk_mul_f32 v[12:13], v[10:11], s[6:7] op_sel:[1,0] op_sel_hi:[0,0]
	v_pk_add_f32 v[14:15], v[44:45], v[46:47] neg_lo:[0,1] neg_hi:[0,1]
	s_mov_b32 s16, 0xbf29c268
	v_add_f32_e32 v35, v145, v17
	v_pk_fma_f32 v[92:93], v[8:9], s[4:5], v[12:13] op_sel_hi:[1,0,1]
	v_pk_fma_f32 v[94:95], v[8:9], s[4:5], v[12:13] op_sel_hi:[1,0,1] neg_lo:[0,0,1] neg_hi:[0,0,1]
	v_pk_add_f32 v[12:13], v[44:45], v[46:47]
	s_mov_b32 s2, 0xbf3f9e67
	v_pk_mul_f32 v[16:17], v[14:15], s[16:17] op_sel:[1,0] op_sel_hi:[0,0]
	v_pk_add_f32 v[18:19], v[42:43], v[38:39] neg_lo:[0,1] neg_hi:[0,1]
	s_mov_b32 s12, 0xbe750f2a
	v_pk_fma_f32 v[98:99], v[12:13], s[2:3], v[16:17] op_sel_hi:[1,0,1]
	v_pk_fma_f32 v[100:101], v[12:13], s[2:3], v[16:17] op_sel_hi:[1,0,1] neg_lo:[0,0,1] neg_hi:[0,0,1]
	v_pk_add_f32 v[16:17], v[42:43], v[38:39]
	s_mov_b32 s10, 0xbf788fa5
	v_pk_mul_f32 v[48:49], v[18:19], s[12:13] op_sel:[1,0] op_sel_hi:[0,0]
	v_pk_fma_f32 v[106:107], v[16:17], s[10:11], v[48:49] op_sel_hi:[1,0,1]
	v_pk_fma_f32 v[112:113], v[16:17], s[10:11], v[48:49] op_sel_hi:[1,0,1] neg_lo:[0,0,1] neg_hi:[0,0,1]
	v_mov_b32_e32 v48, v33
	v_pk_mul_f32 v[48:49], v[48:49], v[0:1] op_sel_hi:[0,1]
	v_pk_fma_f32 v[116:117], v[32:33], v[0:1], v[48:49] op_sel:[0,0,1] op_sel_hi:[1,1,0] neg_lo:[0,0,1] neg_hi:[0,0,1]
	v_pk_fma_f32 v[0:1], v[32:33], v[0:1], v[48:49] op_sel:[0,0,1] op_sel_hi:[0,1,0]
	v_mov_b32_e32 v0, v31
	v_mov_b32_e32 v117, v1
	v_pk_mul_f32 v[0:1], v[0:1], v[2:3] op_sel_hi:[0,1]
	v_pk_fma_f32 v[32:33], v[30:31], v[2:3], v[0:1] op_sel:[0,0,1] op_sel_hi:[1,1,0] neg_lo:[0,0,1] neg_hi:[0,0,1]
	v_pk_fma_f32 v[0:1], v[30:31], v[2:3], v[0:1] op_sel:[0,0,1] op_sel_hi:[0,1,0]
	v_mov_b32_e32 v33, v1
	v_pk_add_f32 v[0:1], v[34:35], v[76:77]
	s_mov_b32 s20, 0xbeedf032
	v_pk_add_f32 v[0:1], v[0:1], v[44:45]
	v_mov_b32_e32 v20, v121
	v_pk_add_f32 v[0:1], v[0:1], v[42:43]
	v_pk_add_f32 v[44:45], v[138:139], v[32:33]
	;; [unrolled: 1-line block ×3, first 2 shown]
	s_mov_b32 s14, 0x3f62ad3f
	v_pk_add_f32 v[0:1], v[0:1], v[46:47]
	v_pk_add_f32 v[46:47], v[138:139], v[32:33] neg_lo:[0,1] neg_hi:[0,1]
	v_pk_add_f32 v[0:1], v[0:1], v[40:41]
	v_pk_add_f32 v[76:77], v[140:141], v[116:117] neg_lo:[0,1] neg_hi:[0,1]
	v_pk_add_f32 v[0:1], v[0:1], v[36:37]
	s_mov_b32 s22, 0xbf52af12
	v_pk_add_f32 v[0:1], v[0:1], v[116:117]
	v_pk_mul_f32 v[20:21], v[118:119], v[20:21] op_sel:[1,0] op_sel_hi:[0,1]
	v_pk_add_f32 v[2:3], v[0:1], v[32:33]
	v_pk_mul_f32 v[0:1], v[46:47], s[20:21] op_sel:[1,0] op_sel_hi:[0,0]
	v_pk_fma_f32 v[32:33], v[44:45], s[14:15], v[0:1] op_sel_hi:[1,0,1]
	v_pk_fma_f32 v[34:35], v[44:45], s[14:15], v[0:1] op_sel_hi:[1,0,1] neg_lo:[0,0,1] neg_hi:[0,0,1]
	v_pk_add_f32 v[48:49], v[140:141], v[116:117]
	s_mov_b32 s20, 0x3f116cb1
	v_pk_mul_f32 v[30:31], v[76:77], s[22:23] op_sel:[1,0] op_sel_hi:[0,0]
	v_pk_fma_f32 v[142:143], v[118:119], v[120:121], v[20:21] neg_lo:[0,0,1] neg_hi:[0,0,1]
	v_pk_mul_f32 v[20:21], v[118:119], v[120:121] op_sel:[1,0] op_sel_hi:[0,1]
	v_mov_b32_e32 v1, v35
	v_pk_fma_f32 v[36:37], v[48:49], s[20:21], v[30:31] op_sel_hi:[1,0,1]
	v_pk_fma_f32 v[38:39], v[48:49], s[20:21], v[30:31] op_sel_hi:[1,0,1] neg_lo:[0,0,1] neg_hi:[0,0,1]
	v_mov_b32_e32 v35, v33
	v_mov_b32_e32 v20, v21
	;; [unrolled: 1-line block ×4, first 2 shown]
	v_pk_add_f32 v[32:33], v[28:29], v[34:35]
	v_mov_b32_e32 v39, v37
	v_pk_fma_f32 v[120:121], v[118:119], v[120:121], v[20:21] op_sel:[1,0,0] op_sel_hi:[0,1,1]
	v_mov_b32_e32 v20, v137
	v_mov_b32_e32 v91, v89
	v_pk_add_f32 v[32:33], v[38:39], v[32:33]
	v_mov_b32_e32 v89, v87
	v_pk_mul_f32 v[20:21], v[134:135], v[20:21] op_sel:[1,0] op_sel_hi:[0,1]
	v_mov_b32_e32 v97, v95
	v_pk_add_f32 v[32:33], v[88:89], v[32:33]
	v_mov_b32_e32 v95, v93
	v_pk_fma_f32 v[110:111], v[134:135], v[136:137], v[20:21] neg_lo:[0,0,1] neg_hi:[0,0,1]
	v_pk_mul_f32 v[20:21], v[134:135], v[136:137] op_sel:[1,0] op_sel_hi:[0,1]
	v_mov_b32_e32 v103, v101
	v_pk_add_f32 v[32:33], v[94:95], v[32:33]
	v_mov_b32_e32 v101, v99
	v_mov_b32_e32 v20, v21
	;; [unrolled: 1-line block ×3, first 2 shown]
	v_pk_add_f32 v[0:1], v[28:29], v[0:1]
	v_mov_b32_e32 v30, v36
	v_pk_add_f32 v[32:33], v[100:101], v[32:33]
	v_mov_b32_e32 v113, v107
	v_pk_fma_f32 v[118:119], v[134:135], v[136:137], v[20:21] op_sel:[1,0,0] op_sel_hi:[0,1,1]
	v_mov_b32_e32 v90, v86
	v_pk_add_f32 v[0:1], v[30:31], v[0:1]
	v_pk_add_f32 v[34:35], v[112:113], v[32:33]
	v_mov_b32_e32 v96, v92
	v_pk_add_f32 v[0:1], v[90:91], v[0:1]
	v_pk_mul_f32 v[36:37], v[34:35], v[118:119] op_sel_hi:[1,0]
	v_mov_b32_e32 v102, v98
	v_pk_add_f32 v[0:1], v[96:97], v[0:1]
	v_pk_fma_f32 v[32:33], v[34:35], v[110:111], v[36:37] op_sel:[0,0,1] op_sel_hi:[1,1,0] neg_lo:[0,0,1] neg_hi:[0,0,1]
	v_pk_fma_f32 v[34:35], v[34:35], v[110:111], v[36:37] op_sel:[0,0,1] op_sel_hi:[1,0,0]
	v_pk_mul_f32 v[36:37], v[46:47], s[12:13] op_sel:[1,0] op_sel_hi:[0,0]
	s_mov_b32 s24, 0x3eedf032
	v_mov_b32_e32 v114, v106
	v_pk_add_f32 v[0:1], v[102:103], v[0:1]
	v_pk_mul_f32 v[40:41], v[2:3], v[120:121] op_sel_hi:[1,0]
	v_pk_fma_f32 v[38:39], v[44:45], s[10:11], v[36:37] op_sel_hi:[1,0,1]
	v_pk_fma_f32 v[36:37], v[44:45], s[10:11], v[36:37] op_sel_hi:[1,0,1] neg_lo:[0,0,1] neg_hi:[0,0,1]
	v_pk_mul_f32 v[42:43], v[76:77], s[24:25] op_sel:[1,0] op_sel_hi:[0,0]
	v_pk_add_f32 v[30:31], v[114:115], v[0:1]
	v_pk_fma_f32 v[0:1], v[2:3], v[142:143], v[40:41] op_sel:[0,0,1] op_sel_hi:[1,1,0] neg_lo:[0,0,1] neg_hi:[0,0,1]
	v_pk_fma_f32 v[2:3], v[2:3], v[142:143], v[40:41] op_sel:[0,0,1] op_sel_hi:[1,0,0]
	v_mov_b32_e32 v40, v38
	v_mov_b32_e32 v41, v37
	v_pk_fma_f32 v[86:87], v[48:49], s[14:15], v[42:43] op_sel_hi:[1,0,1]
	v_pk_fma_f32 v[42:43], v[48:49], s[14:15], v[42:43] op_sel_hi:[1,0,1] neg_lo:[0,0,1] neg_hi:[0,0,1]
	v_pk_add_f32 v[40:41], v[28:29], v[40:41]
	v_mov_b32_e32 v88, v86
	v_mov_b32_e32 v89, v43
	v_pk_add_f32 v[40:41], v[88:89], v[40:41]
	v_pk_mul_f32 v[88:89], v[6:7], s[16:17] op_sel:[1,0] op_sel_hi:[0,0]
	v_pk_fma_f32 v[90:91], v[4:5], s[2:3], v[88:89] op_sel_hi:[1,0,1]
	v_pk_fma_f32 v[88:89], v[4:5], s[2:3], v[88:89] op_sel_hi:[1,0,1] neg_lo:[0,0,1] neg_hi:[0,0,1]
	v_mov_b32_e32 v92, v90
	v_mov_b32_e32 v93, v89
	s_mov_b32 s28, 0x3f52af12
	v_pk_add_f32 v[40:41], v[92:93], v[40:41]
	v_pk_mul_f32 v[92:93], v[10:11], s[28:29] op_sel:[1,0] op_sel_hi:[0,0]
	v_pk_fma_f32 v[94:95], v[8:9], s[20:21], v[92:93] op_sel_hi:[1,0,1]
	v_pk_fma_f32 v[92:93], v[8:9], s[20:21], v[92:93] op_sel_hi:[1,0,1] neg_lo:[0,0,1] neg_hi:[0,0,1]
	v_mov_b32_e32 v96, v94
	v_mov_b32_e32 v97, v93
	v_pk_add_f32 v[40:41], v[96:97], v[40:41]
	v_pk_mul_f32 v[96:97], v[14:15], s[6:7] op_sel:[1,0] op_sel_hi:[0,0]
	v_mov_b32_e32 v37, v39
	v_pk_fma_f32 v[98:99], v[12:13], s[4:5], v[96:97] op_sel_hi:[1,0,1]
	v_pk_fma_f32 v[96:97], v[12:13], s[4:5], v[96:97] op_sel_hi:[1,0,1] neg_lo:[0,0,1] neg_hi:[0,0,1]
	v_pk_add_f32 v[36:37], v[28:29], v[36:37]
	v_mov_b32_e32 v43, v87
	v_mov_b32_e32 v100, v98
	;; [unrolled: 1-line block ×3, first 2 shown]
	s_mov_b32 s26, 0x3f7e222b
	v_pk_add_f32 v[36:37], v[42:43], v[36:37]
	v_mov_b32_e32 v89, v91
	v_pk_add_f32 v[40:41], v[100:101], v[40:41]
	v_pk_mul_f32 v[100:101], v[18:19], s[26:27] op_sel:[1,0] op_sel_hi:[0,0]
	v_pk_add_f32 v[36:37], v[88:89], v[36:37]
	v_mov_b32_e32 v93, v95
	v_pk_fma_f32 v[102:103], v[16:17], s[0:1], v[100:101] op_sel_hi:[1,0,1]
	v_pk_fma_f32 v[100:101], v[16:17], s[0:1], v[100:101] op_sel_hi:[1,0,1] neg_lo:[0,0,1] neg_hi:[0,0,1]
	v_pk_add_f32 v[36:37], v[92:93], v[36:37]
	v_mov_b32_e32 v97, v99
	v_mov_b32_e32 v107, v101
	v_pk_add_f32 v[36:37], v[96:97], v[36:37]
	v_mov_b32_e32 v101, v103
	v_mov_b32_e32 v106, v102
	v_pk_add_f32 v[36:37], v[100:101], v[36:37]
	v_pk_add_f32 v[106:107], v[106:107], v[40:41]
	v_pk_mul_f32 v[38:39], v[36:37], v[108:109] op_sel_hi:[1,0]
	v_pk_mul_f32 v[88:89], v[76:77], s[26:27] op_sel:[1,0] op_sel_hi:[0,0]
	v_pk_fma_f32 v[40:41], v[36:37], v[82:83], v[38:39] op_sel:[0,0,1] op_sel_hi:[1,1,0] neg_lo:[0,0,1] neg_hi:[0,0,1]
	v_pk_fma_f32 v[42:43], v[36:37], v[82:83], v[38:39] op_sel:[0,0,1] op_sel_hi:[1,0,0]
	v_pk_mul_f32 v[38:39], v[106:107], v[104:105] op_sel_hi:[1,0]
	v_pk_mul_f32 v[82:83], v[46:47], s[16:17] op_sel:[1,0] op_sel_hi:[0,0]
	v_pk_fma_f32 v[36:37], v[106:107], v[84:85], v[38:39] op_sel:[0,0,1] op_sel_hi:[1,1,0] neg_lo:[0,0,1] neg_hi:[0,0,1]
	v_pk_fma_f32 v[38:39], v[106:107], v[84:85], v[38:39] op_sel:[0,0,1] op_sel_hi:[1,0,0]
	v_pk_fma_f32 v[84:85], v[44:45], s[2:3], v[82:83] op_sel_hi:[1,0,1]
	v_pk_fma_f32 v[82:83], v[44:45], s[2:3], v[82:83] op_sel_hi:[1,0,1] neg_lo:[0,0,1] neg_hi:[0,0,1]
	v_mov_b32_e32 v86, v84
	v_mov_b32_e32 v87, v83
	v_pk_fma_f32 v[90:91], v[48:49], s[0:1], v[88:89] op_sel_hi:[1,0,1]
	v_pk_fma_f32 v[88:89], v[48:49], s[0:1], v[88:89] op_sel_hi:[1,0,1] neg_lo:[0,0,1] neg_hi:[0,0,1]
	v_pk_add_f32 v[86:87], v[28:29], v[86:87]
	v_mov_b32_e32 v92, v90
	v_mov_b32_e32 v93, v89
	v_pk_add_f32 v[86:87], v[92:93], v[86:87]
	v_pk_mul_f32 v[92:93], v[6:7], s[22:23] op_sel:[1,0] op_sel_hi:[0,0]
	v_pk_fma_f32 v[94:95], v[4:5], s[20:21], v[92:93] op_sel_hi:[1,0,1]
	v_pk_fma_f32 v[92:93], v[4:5], s[20:21], v[92:93] op_sel_hi:[1,0,1] neg_lo:[0,0,1] neg_hi:[0,0,1]
	v_mov_b32_e32 v96, v94
	v_mov_b32_e32 v97, v93
	s_mov_b32 s34, 0x3e750f2a
	v_pk_add_f32 v[86:87], v[96:97], v[86:87]
	v_pk_mul_f32 v[96:97], v[10:11], s[34:35] op_sel:[1,0] op_sel_hi:[0,0]
	v_pk_fma_f32 v[98:99], v[8:9], s[10:11], v[96:97] op_sel_hi:[1,0,1]
	v_pk_fma_f32 v[96:97], v[8:9], s[10:11], v[96:97] op_sel_hi:[1,0,1] neg_lo:[0,0,1] neg_hi:[0,0,1]
	v_mov_b32_e32 v100, v98
	v_mov_b32_e32 v101, v97
	v_pk_add_f32 v[86:87], v[100:101], v[86:87]
	v_pk_mul_f32 v[100:101], v[14:15], s[24:25] op_sel:[1,0] op_sel_hi:[0,0]
	v_mov_b32_e32 v83, v85
	v_pk_fma_f32 v[102:103], v[12:13], s[14:15], v[100:101] op_sel_hi:[1,0,1]
	v_pk_fma_f32 v[100:101], v[12:13], s[14:15], v[100:101] op_sel_hi:[1,0,1] neg_lo:[0,0,1] neg_hi:[0,0,1]
	v_pk_add_f32 v[82:83], v[28:29], v[82:83]
	v_mov_b32_e32 v89, v91
	v_mov_b32_e32 v104, v102
	v_mov_b32_e32 v105, v101
	v_pk_add_f32 v[82:83], v[88:89], v[82:83]
	v_mov_b32_e32 v93, v95
	v_pk_add_f32 v[86:87], v[104:105], v[86:87]
	v_pk_mul_f32 v[104:105], v[18:19], s[6:7] op_sel:[1,0] op_sel_hi:[0,0]
	v_pk_add_f32 v[82:83], v[92:93], v[82:83]
	v_mov_b32_e32 v97, v99
	v_pk_fma_f32 v[106:107], v[16:17], s[4:5], v[104:105] op_sel_hi:[1,0,1]
	v_pk_fma_f32 v[104:105], v[16:17], s[4:5], v[104:105] op_sel_hi:[1,0,1] neg_lo:[0,0,1] neg_hi:[0,0,1]
	v_pk_add_f32 v[82:83], v[96:97], v[82:83]
	v_mov_b32_e32 v101, v103
	v_mov_b32_e32 v109, v105
	v_pk_add_f32 v[82:83], v[100:101], v[82:83]
	v_mov_b32_e32 v105, v107
	v_mov_b32_e32 v108, v106
	v_pk_add_f32 v[82:83], v[104:105], v[82:83]
	v_pk_add_f32 v[86:87], v[108:109], v[86:87]
	v_pk_mul_f32 v[74:75], v[82:83], v[74:75] op_sel_hi:[1,0]
	s_mov_b32 s30, 0x3f29c268
	v_pk_fma_f32 v[84:85], v[82:83], v[72:73], v[74:75] op_sel:[0,0,1] op_sel_hi:[1,1,0] neg_lo:[0,0,1] neg_hi:[0,0,1]
	v_pk_fma_f32 v[82:83], v[82:83], v[72:73], v[74:75] op_sel:[0,0,1] op_sel_hi:[1,0,0]
	v_pk_mul_f32 v[74:75], v[86:87], v[80:81] op_sel_hi:[1,0]
	v_pk_mul_f32 v[88:89], v[76:77], s[30:31] op_sel:[1,0] op_sel_hi:[0,0]
	v_pk_fma_f32 v[72:73], v[86:87], v[78:79], v[74:75] op_sel:[0,0,1] op_sel_hi:[1,1,0] neg_lo:[0,0,1] neg_hi:[0,0,1]
	v_pk_fma_f32 v[74:75], v[86:87], v[78:79], v[74:75] op_sel:[0,0,1] op_sel_hi:[1,0,0]
	v_pk_mul_f32 v[78:79], v[46:47], s[6:7] op_sel:[1,0] op_sel_hi:[0,0]
	v_pk_fma_f32 v[80:81], v[44:45], s[4:5], v[78:79] op_sel_hi:[1,0,1]
	v_pk_fma_f32 v[78:79], v[44:45], s[4:5], v[78:79] op_sel_hi:[1,0,1] neg_lo:[0,0,1] neg_hi:[0,0,1]
	v_mov_b32_e32 v86, v80
	v_mov_b32_e32 v87, v79
	v_pk_fma_f32 v[90:91], v[48:49], s[2:3], v[88:89] op_sel_hi:[1,0,1]
	v_pk_fma_f32 v[88:89], v[48:49], s[2:3], v[88:89] op_sel_hi:[1,0,1] neg_lo:[0,0,1] neg_hi:[0,0,1]
	v_pk_add_f32 v[86:87], v[28:29], v[86:87]
	v_mov_b32_e32 v92, v90
	v_mov_b32_e32 v93, v89
	v_pk_add_f32 v[86:87], v[92:93], v[86:87]
	v_pk_mul_f32 v[92:93], v[6:7], s[24:25] op_sel:[1,0] op_sel_hi:[0,0]
	v_pk_fma_f32 v[94:95], v[4:5], s[14:15], v[92:93] op_sel_hi:[1,0,1]
	v_pk_fma_f32 v[92:93], v[4:5], s[14:15], v[92:93] op_sel_hi:[1,0,1] neg_lo:[0,0,1] neg_hi:[0,0,1]
	v_mov_b32_e32 v96, v94
	v_mov_b32_e32 v97, v93
	v_pk_add_f32 v[86:87], v[96:97], v[86:87]
	v_pk_mul_f32 v[96:97], v[10:11], s[18:19] op_sel:[1,0] op_sel_hi:[0,0]
	v_pk_fma_f32 v[98:99], v[8:9], s[0:1], v[96:97] op_sel_hi:[1,0,1]
	v_pk_fma_f32 v[96:97], v[8:9], s[0:1], v[96:97] op_sel_hi:[1,0,1] neg_lo:[0,0,1] neg_hi:[0,0,1]
	v_mov_b32_e32 v100, v98
	v_mov_b32_e32 v101, v97
	v_pk_add_f32 v[86:87], v[100:101], v[86:87]
	v_pk_mul_f32 v[100:101], v[14:15], s[34:35] op_sel:[1,0] op_sel_hi:[0,0]
	v_mov_b32_e32 v79, v81
	v_pk_fma_f32 v[102:103], v[12:13], s[10:11], v[100:101] op_sel_hi:[1,0,1]
	v_pk_fma_f32 v[100:101], v[12:13], s[10:11], v[100:101] op_sel_hi:[1,0,1] neg_lo:[0,0,1] neg_hi:[0,0,1]
	v_pk_add_f32 v[78:79], v[28:29], v[78:79]
	v_mov_b32_e32 v89, v91
	v_mov_b32_e32 v104, v102
	v_mov_b32_e32 v105, v101
	v_pk_add_f32 v[78:79], v[88:89], v[78:79]
	v_mov_b32_e32 v93, v95
	v_pk_add_f32 v[86:87], v[104:105], v[86:87]
	v_pk_mul_f32 v[104:105], v[18:19], s[28:29] op_sel:[1,0] op_sel_hi:[0,0]
	v_pk_add_f32 v[78:79], v[92:93], v[78:79]
	v_mov_b32_e32 v97, v99
	v_pk_fma_f32 v[106:107], v[16:17], s[20:21], v[104:105] op_sel_hi:[1,0,1]
	v_pk_fma_f32 v[104:105], v[16:17], s[20:21], v[104:105] op_sel_hi:[1,0,1] neg_lo:[0,0,1] neg_hi:[0,0,1]
	v_pk_add_f32 v[78:79], v[96:97], v[78:79]
	v_mov_b32_e32 v101, v103
	v_mov_b32_e32 v109, v105
	v_pk_add_f32 v[78:79], v[100:101], v[78:79]
	v_mov_b32_e32 v105, v107
	v_mov_b32_e32 v108, v106
	v_pk_add_f32 v[78:79], v[104:105], v[78:79]
	v_pk_add_f32 v[86:87], v[108:109], v[86:87]
	v_pk_mul_f32 v[66:67], v[78:79], v[66:67] op_sel_hi:[1,0]
	v_pk_mul_f32 v[88:89], v[76:77], s[12:13] op_sel:[1,0] op_sel_hi:[0,0]
	v_pk_fma_f32 v[80:81], v[78:79], v[64:65], v[66:67] op_sel:[0,0,1] op_sel_hi:[1,1,0] neg_lo:[0,0,1] neg_hi:[0,0,1]
	v_pk_fma_f32 v[64:65], v[78:79], v[64:65], v[66:67] op_sel:[0,0,1] op_sel_hi:[1,0,0]
	v_pk_mul_f32 v[66:67], v[86:87], v[70:71] op_sel_hi:[1,0]
	v_pk_fma_f32 v[90:91], v[48:49], s[10:11], v[88:89] op_sel_hi:[1,0,1]
	v_pk_fma_f32 v[70:71], v[86:87], v[68:69], v[66:67] op_sel:[0,0,1] op_sel_hi:[1,1,0] neg_lo:[0,0,1] neg_hi:[0,0,1]
	v_pk_fma_f32 v[66:67], v[86:87], v[68:69], v[66:67] op_sel:[0,0,1] op_sel_hi:[1,0,0]
	v_pk_mul_f32 v[68:69], v[46:47], s[18:19] op_sel:[1,0] op_sel_hi:[0,0]
	v_pk_fma_f32 v[78:79], v[44:45], s[0:1], v[68:69] op_sel_hi:[1,0,1]
	v_pk_fma_f32 v[68:69], v[44:45], s[0:1], v[68:69] op_sel_hi:[1,0,1] neg_lo:[0,0,1] neg_hi:[0,0,1]
	v_mov_b32_e32 v86, v78
	v_mov_b32_e32 v87, v69
	v_pk_fma_f32 v[88:89], v[48:49], s[10:11], v[88:89] op_sel_hi:[1,0,1] neg_lo:[0,0,1] neg_hi:[0,0,1]
	v_pk_add_f32 v[86:87], v[28:29], v[86:87]
	v_mov_b32_e32 v92, v90
	v_mov_b32_e32 v93, v89
	s_mov_b32 s18, 0x3f6f5d39
	v_pk_add_f32 v[86:87], v[92:93], v[86:87]
	v_pk_mul_f32 v[92:93], v[6:7], s[18:19] op_sel:[1,0] op_sel_hi:[0,0]
	v_pk_fma_f32 v[94:95], v[4:5], s[4:5], v[92:93] op_sel_hi:[1,0,1]
	v_pk_fma_f32 v[92:93], v[4:5], s[4:5], v[92:93] op_sel_hi:[1,0,1] neg_lo:[0,0,1] neg_hi:[0,0,1]
	v_mov_b32_e32 v96, v94
	v_mov_b32_e32 v97, v93
	v_pk_add_f32 v[86:87], v[96:97], v[86:87]
	v_pk_mul_f32 v[96:97], v[10:11], s[24:25] op_sel:[1,0] op_sel_hi:[0,0]
	v_pk_fma_f32 v[98:99], v[8:9], s[14:15], v[96:97] op_sel_hi:[1,0,1]
	v_pk_fma_f32 v[96:97], v[8:9], s[14:15], v[96:97] op_sel_hi:[1,0,1] neg_lo:[0,0,1] neg_hi:[0,0,1]
	v_mov_b32_e32 v100, v98
	v_mov_b32_e32 v101, v97
	v_pk_add_f32 v[86:87], v[100:101], v[86:87]
	v_pk_mul_f32 v[100:101], v[14:15], s[22:23] op_sel:[1,0] op_sel_hi:[0,0]
	v_mov_b32_e32 v69, v79
	v_pk_fma_f32 v[102:103], v[12:13], s[20:21], v[100:101] op_sel_hi:[1,0,1]
	v_pk_fma_f32 v[100:101], v[12:13], s[20:21], v[100:101] op_sel_hi:[1,0,1] neg_lo:[0,0,1] neg_hi:[0,0,1]
	v_pk_add_f32 v[68:69], v[28:29], v[68:69]
	v_mov_b32_e32 v89, v91
	v_mov_b32_e32 v104, v102
	;; [unrolled: 1-line block ×3, first 2 shown]
	v_pk_add_f32 v[68:69], v[88:89], v[68:69]
	v_mov_b32_e32 v93, v95
	v_pk_add_f32 v[86:87], v[104:105], v[86:87]
	v_pk_mul_f32 v[104:105], v[18:19], s[16:17] op_sel:[1,0] op_sel_hi:[0,0]
	v_pk_add_f32 v[68:69], v[92:93], v[68:69]
	v_mov_b32_e32 v97, v99
	v_pk_fma_f32 v[106:107], v[16:17], s[2:3], v[104:105] op_sel_hi:[1,0,1]
	v_pk_fma_f32 v[104:105], v[16:17], s[2:3], v[104:105] op_sel_hi:[1,0,1] neg_lo:[0,0,1] neg_hi:[0,0,1]
	v_pk_add_f32 v[68:69], v[96:97], v[68:69]
	v_mov_b32_e32 v101, v103
	v_mov_b32_e32 v109, v105
	v_pk_add_f32 v[68:69], v[100:101], v[68:69]
	v_mov_b32_e32 v105, v107
	v_mov_b32_e32 v108, v106
	v_pk_add_f32 v[68:69], v[104:105], v[68:69]
	v_pk_add_f32 v[86:87], v[108:109], v[86:87]
	v_pk_mul_f32 v[58:59], v[68:69], v[58:59] op_sel_hi:[1,0]
	v_pk_mul_f32 v[46:47], v[46:47], s[22:23] op_sel:[1,0] op_sel_hi:[0,0]
	v_pk_fma_f32 v[78:79], v[68:69], v[54:55], v[58:59] op_sel:[0,0,1] op_sel_hi:[1,1,0] neg_lo:[0,0,1] neg_hi:[0,0,1]
	v_pk_fma_f32 v[54:55], v[68:69], v[54:55], v[58:59] op_sel:[0,0,1] op_sel_hi:[1,0,0]
	v_pk_mul_f32 v[58:59], v[86:87], v[62:63] op_sel_hi:[1,0]
	v_pk_mul_f32 v[68:69], v[76:77], s[6:7] op_sel:[1,0] op_sel_hi:[0,0]
	v_pk_fma_f32 v[62:63], v[86:87], v[60:61], v[58:59] op_sel:[0,0,1] op_sel_hi:[1,1,0] neg_lo:[0,0,1] neg_hi:[0,0,1]
	v_pk_fma_f32 v[58:59], v[86:87], v[60:61], v[58:59] op_sel:[0,0,1] op_sel_hi:[1,0,0]
	v_pk_fma_f32 v[60:61], v[44:45], s[20:21], v[46:47] op_sel_hi:[1,0,1]
	v_pk_fma_f32 v[44:45], v[44:45], s[20:21], v[46:47] op_sel_hi:[1,0,1] neg_lo:[0,0,1] neg_hi:[0,0,1]
	v_mov_b32_e32 v46, v60
	v_mov_b32_e32 v47, v45
	v_pk_fma_f32 v[76:77], v[48:49], s[4:5], v[68:69] op_sel_hi:[1,0,1]
	v_pk_fma_f32 v[48:49], v[48:49], s[4:5], v[68:69] op_sel_hi:[1,0,1] neg_lo:[0,0,1] neg_hi:[0,0,1]
	v_pk_add_f32 v[46:47], v[28:29], v[46:47]
	v_mov_b32_e32 v68, v76
	v_mov_b32_e32 v69, v49
	v_pk_mul_f32 v[6:7], v[6:7], s[12:13] op_sel:[1,0] op_sel_hi:[0,0]
	v_pk_add_f32 v[46:47], v[68:69], v[46:47]
	v_pk_fma_f32 v[68:69], v[4:5], s[10:11], v[6:7] op_sel_hi:[1,0,1]
	v_pk_fma_f32 v[4:5], v[4:5], s[10:11], v[6:7] op_sel_hi:[1,0,1] neg_lo:[0,0,1] neg_hi:[0,0,1]
	v_mov_b32_e32 v6, v68
	v_mov_b32_e32 v7, v5
	v_pk_mul_f32 v[10:11], v[10:11], s[30:31] op_sel:[1,0] op_sel_hi:[0,0]
	v_pk_add_f32 v[6:7], v[6:7], v[46:47]
	v_pk_fma_f32 v[46:47], v[8:9], s[2:3], v[10:11] op_sel_hi:[1,0,1]
	v_pk_fma_f32 v[8:9], v[8:9], s[2:3], v[10:11] op_sel_hi:[1,0,1] neg_lo:[0,0,1] neg_hi:[0,0,1]
	v_mov_b32_e32 v10, v46
	v_mov_b32_e32 v11, v9
	v_pk_add_f32 v[6:7], v[10:11], v[6:7]
	v_pk_mul_f32 v[10:11], v[14:15], s[26:27] op_sel:[1,0] op_sel_hi:[0,0]
	v_pk_fma_f32 v[14:15], v[12:13], s[0:1], v[10:11] op_sel_hi:[1,0,1]
	v_pk_fma_f32 v[10:11], v[12:13], s[0:1], v[10:11] op_sel_hi:[1,0,1] neg_lo:[0,0,1] neg_hi:[0,0,1]
	v_mov_b32_e32 v12, v14
	v_mov_b32_e32 v13, v11
	v_pk_add_f32 v[6:7], v[12:13], v[6:7]
	v_pk_mul_f32 v[12:13], v[18:19], s[24:25] op_sel:[1,0] op_sel_hi:[0,0]
	v_pk_fma_f32 v[18:19], v[16:17], s[14:15], v[12:13] op_sel_hi:[1,0,1]
	v_pk_fma_f32 v[12:13], v[16:17], s[14:15], v[12:13] op_sel_hi:[1,0,1] neg_lo:[0,0,1] neg_hi:[0,0,1]
	v_mov_b32_e32 v16, v18
	v_mov_b32_e32 v17, v13
	;; [unrolled: 1-line block ×3, first 2 shown]
	v_pk_add_f32 v[6:7], v[16:17], v[6:7]
	v_pk_add_f32 v[16:17], v[28:29], v[44:45]
	v_mov_b32_e32 v49, v77
	v_pk_add_f32 v[16:17], v[48:49], v[16:17]
	v_mov_b32_e32 v5, v69
	v_pk_add_f32 v[4:5], v[4:5], v[16:17]
	v_mad_u64_u32 v[16:17], s[0:1], s8, v147, 0
	v_mov_b32_e32 v2, v17
	v_mov_b32_e32 v13, v19
	v_mad_u64_u32 v[18:19], s[0:1], s9, v147, v[2:3]
	v_mov_b32_e32 v17, v18
	v_lshl_add_u64 v[16:17], v[16:17], 3, v[56:57]
	v_mov_b32_e32 v1, v3
	v_add_u32_e32 v3, 29, v146
	global_store_dwordx2 v[16:17], v[0:1], off
	v_mad_u64_u32 v[0:1], s[0:1], s8, v3, 0
	v_mov_b32_e32 v2, v1
	v_mad_u64_u32 v[2:3], s[0:1], s9, v3, v[2:3]
	v_mov_b32_e32 v9, v47
	v_mov_b32_e32 v1, v2
	v_pk_mul_f32 v[22:23], v[128:129], v[130:131] op_sel:[1,0] op_sel_hi:[0,1]
	v_pk_add_f32 v[4:5], v[8:9], v[4:5]
	v_mov_b32_e32 v11, v15
	v_lshl_add_u64 v[0:1], v[0:1], 3, v[56:57]
	v_mov_b32_e32 v33, v35
	v_add_u32_e32 v3, 45, v146
	v_mov_b32_e32 v20, v131
	v_mov_b32_e32 v22, v23
	v_pk_add_f32 v[4:5], v[10:11], v[4:5]
	global_store_dwordx2 v[0:1], v[32:33], off
	v_mad_u64_u32 v[0:1], s[0:1], s8, v3, 0
	v_pk_mul_f32 v[20:21], v[128:129], v[20:21] op_sel:[1,0] op_sel_hi:[0,1]
	v_pk_fma_f32 v[22:23], v[128:129], v[130:131], v[22:23] op_sel:[1,0,0] op_sel_hi:[0,1,1]
	v_pk_add_f32 v[4:5], v[12:13], v[4:5]
	v_mov_b32_e32 v2, v1
	v_pk_fma_f32 v[20:21], v[128:129], v[130:131], v[20:21] neg_lo:[0,0,1] neg_hi:[0,0,1]
	v_pk_mul_f32 v[8:9], v[4:5], v[22:23] op_sel_hi:[1,0]
	v_mad_u64_u32 v[2:3], s[0:1], s9, v3, v[2:3]
	v_pk_fma_f32 v[10:11], v[4:5], v[20:21], v[8:9] op_sel:[0,0,1] op_sel_hi:[1,1,0] neg_lo:[0,0,1] neg_hi:[0,0,1]
	v_pk_fma_f32 v[4:5], v[4:5], v[20:21], v[8:9] op_sel:[0,0,1] op_sel_hi:[1,0,0]
	v_mov_b32_e32 v1, v2
	v_lshl_add_u64 v[0:1], v[0:1], 3, v[56:57]
	v_mov_b32_e32 v11, v5
	v_add_u32_e32 v3, 61, v146
	global_store_dwordx2 v[0:1], v[10:11], off
	v_mad_u64_u32 v[0:1], s[0:1], s8, v3, 0
	v_mov_b32_e32 v2, v1
	v_mad_u64_u32 v[2:3], s[0:1], s9, v3, v[2:3]
	v_mov_b32_e32 v1, v2
	v_lshl_add_u64 v[0:1], v[0:1], 3, v[56:57]
	v_mov_b32_e32 v79, v55
	v_add_u32_e32 v3, 0x4d, v146
	global_store_dwordx2 v[0:1], v[78:79], off
	v_mad_u64_u32 v[0:1], s[0:1], s8, v3, 0
	v_mov_b32_e32 v2, v1
	v_mad_u64_u32 v[2:3], s[0:1], s9, v3, v[2:3]
	;; [unrolled: 8-line block ×8, first 2 shown]
	v_mov_b32_e32 v1, v2
	v_lshl_add_u64 v[0:1], v[0:1], 3, v[56:57]
	v_mov_b32_e32 v63, v59
	v_add_u32_e32 v3, 0xbd, v146
	global_store_dwordx2 v[0:1], v[62:63], off
	v_mad_u64_u32 v[0:1], s[0:1], s8, v3, 0
	v_mov_b32_e32 v2, v1
	v_pk_mul_f32 v[8:9], v[6:7], v[50:51] op_sel_hi:[1,0]
	v_mad_u64_u32 v[2:3], s[0:1], s9, v3, v[2:3]
	v_pk_fma_f32 v[12:13], v[6:7], v[24:25], v[8:9] op_sel:[0,0,1] op_sel_hi:[1,1,0] neg_lo:[0,0,1] neg_hi:[0,0,1]
	v_pk_fma_f32 v[6:7], v[6:7], v[24:25], v[8:9] op_sel:[0,0,1] op_sel_hi:[1,0,0]
	v_mov_b32_e32 v1, v2
	v_lshl_add_u64 v[0:1], v[0:1], 3, v[56:57]
	v_mov_b32_e32 v13, v7
	v_add_u32_e32 v3, 0xcd, v146
	global_store_dwordx2 v[0:1], v[12:13], off
	v_mad_u64_u32 v[0:1], s[0:1], s8, v3, 0
	v_mov_b32_e32 v2, v1
	v_pk_mul_f32 v[8:9], v[30:31], v[52:53] op_sel_hi:[1,0]
	v_mad_u64_u32 v[2:3], s[0:1], s9, v3, v[2:3]
	v_pk_fma_f32 v[14:15], v[30:31], v[26:27], v[8:9] op_sel:[0,0,1] op_sel_hi:[1,1,0] neg_lo:[0,0,1] neg_hi:[0,0,1]
	v_pk_fma_f32 v[8:9], v[30:31], v[26:27], v[8:9] op_sel:[0,0,1] op_sel_hi:[1,0,0]
	v_mov_b32_e32 v1, v2
	v_lshl_add_u64 v[0:1], v[0:1], 3, v[56:57]
	v_mov_b32_e32 v15, v9
	global_store_dwordx2 v[0:1], v[14:15], off
	s_endpgm
	.section	.rodata,"a",@progbits
	.p2align	6, 0x0
	.amdhsa_kernel fft_rtc_fwd_len208_factors_2_2_4_13_wgs_247_tpt_13_dim3_sp_ip_CI_sbcc_twdbase8_2step_dirReg
		.amdhsa_group_segment_fixed_size 0
		.amdhsa_private_segment_fixed_size 0
		.amdhsa_kernarg_size 88
		.amdhsa_user_sgpr_count 2
		.amdhsa_user_sgpr_dispatch_ptr 0
		.amdhsa_user_sgpr_queue_ptr 0
		.amdhsa_user_sgpr_kernarg_segment_ptr 1
		.amdhsa_user_sgpr_dispatch_id 0
		.amdhsa_user_sgpr_kernarg_preload_length 0
		.amdhsa_user_sgpr_kernarg_preload_offset 0
		.amdhsa_user_sgpr_private_segment_size 0
		.amdhsa_uses_dynamic_stack 0
		.amdhsa_enable_private_segment 0
		.amdhsa_system_sgpr_workgroup_id_x 1
		.amdhsa_system_sgpr_workgroup_id_y 0
		.amdhsa_system_sgpr_workgroup_id_z 0
		.amdhsa_system_sgpr_workgroup_info 0
		.amdhsa_system_vgpr_workitem_id 0
		.amdhsa_next_free_vgpr 182
		.amdhsa_next_free_sgpr 52
		.amdhsa_accum_offset 184
		.amdhsa_reserve_vcc 1
		.amdhsa_float_round_mode_32 0
		.amdhsa_float_round_mode_16_64 0
		.amdhsa_float_denorm_mode_32 3
		.amdhsa_float_denorm_mode_16_64 3
		.amdhsa_dx10_clamp 1
		.amdhsa_ieee_mode 1
		.amdhsa_fp16_overflow 0
		.amdhsa_tg_split 0
		.amdhsa_exception_fp_ieee_invalid_op 0
		.amdhsa_exception_fp_denorm_src 0
		.amdhsa_exception_fp_ieee_div_zero 0
		.amdhsa_exception_fp_ieee_overflow 0
		.amdhsa_exception_fp_ieee_underflow 0
		.amdhsa_exception_fp_ieee_inexact 0
		.amdhsa_exception_int_div_zero 0
	.end_amdhsa_kernel
	.text
.Lfunc_end0:
	.size	fft_rtc_fwd_len208_factors_2_2_4_13_wgs_247_tpt_13_dim3_sp_ip_CI_sbcc_twdbase8_2step_dirReg, .Lfunc_end0-fft_rtc_fwd_len208_factors_2_2_4_13_wgs_247_tpt_13_dim3_sp_ip_CI_sbcc_twdbase8_2step_dirReg
                                        ; -- End function
	.section	.AMDGPU.csdata,"",@progbits
; Kernel info:
; codeLenInByte = 15696
; NumSgprs: 58
; NumVgprs: 182
; NumAgprs: 0
; TotalNumVgprs: 182
; ScratchSize: 0
; MemoryBound: 0
; FloatMode: 240
; IeeeMode: 1
; LDSByteSize: 0 bytes/workgroup (compile time only)
; SGPRBlocks: 7
; VGPRBlocks: 22
; NumSGPRsForWavesPerEU: 58
; NumVGPRsForWavesPerEU: 182
; AccumOffset: 184
; Occupancy: 2
; WaveLimiterHint : 1
; COMPUTE_PGM_RSRC2:SCRATCH_EN: 0
; COMPUTE_PGM_RSRC2:USER_SGPR: 2
; COMPUTE_PGM_RSRC2:TRAP_HANDLER: 0
; COMPUTE_PGM_RSRC2:TGID_X_EN: 1
; COMPUTE_PGM_RSRC2:TGID_Y_EN: 0
; COMPUTE_PGM_RSRC2:TGID_Z_EN: 0
; COMPUTE_PGM_RSRC2:TIDIG_COMP_CNT: 0
; COMPUTE_PGM_RSRC3_GFX90A:ACCUM_OFFSET: 45
; COMPUTE_PGM_RSRC3_GFX90A:TG_SPLIT: 0
	.text
	.p2alignl 6, 3212836864
	.fill 256, 4, 3212836864
	.type	__hip_cuid_d8f17c50c27c4aa1,@object ; @__hip_cuid_d8f17c50c27c4aa1
	.section	.bss,"aw",@nobits
	.globl	__hip_cuid_d8f17c50c27c4aa1
__hip_cuid_d8f17c50c27c4aa1:
	.byte	0                               ; 0x0
	.size	__hip_cuid_d8f17c50c27c4aa1, 1

	.ident	"AMD clang version 19.0.0git (https://github.com/RadeonOpenCompute/llvm-project roc-6.4.0 25133 c7fe45cf4b819c5991fe208aaa96edf142730f1d)"
	.section	".note.GNU-stack","",@progbits
	.addrsig
	.addrsig_sym __hip_cuid_d8f17c50c27c4aa1
	.amdgpu_metadata
---
amdhsa.kernels:
  - .agpr_count:     0
    .args:
      - .actual_access:  read_only
        .address_space:  global
        .offset:         0
        .size:           8
        .value_kind:     global_buffer
      - .address_space:  global
        .offset:         8
        .size:           8
        .value_kind:     global_buffer
      - .actual_access:  read_only
        .address_space:  global
        .offset:         16
        .size:           8
        .value_kind:     global_buffer
      - .actual_access:  read_only
        .address_space:  global
        .offset:         24
        .size:           8
        .value_kind:     global_buffer
      - .offset:         32
        .size:           8
        .value_kind:     by_value
      - .actual_access:  read_only
        .address_space:  global
        .offset:         40
        .size:           8
        .value_kind:     global_buffer
      - .actual_access:  read_only
        .address_space:  global
        .offset:         48
        .size:           8
        .value_kind:     global_buffer
      - .offset:         56
        .size:           4
        .value_kind:     by_value
      - .actual_access:  read_only
        .address_space:  global
        .offset:         64
        .size:           8
        .value_kind:     global_buffer
      - .actual_access:  read_only
        .address_space:  global
        .offset:         72
        .size:           8
        .value_kind:     global_buffer
      - .address_space:  global
        .offset:         80
        .size:           8
        .value_kind:     global_buffer
    .group_segment_fixed_size: 0
    .kernarg_segment_align: 8
    .kernarg_segment_size: 88
    .language:       OpenCL C
    .language_version:
      - 2
      - 0
    .max_flat_workgroup_size: 247
    .name:           fft_rtc_fwd_len208_factors_2_2_4_13_wgs_247_tpt_13_dim3_sp_ip_CI_sbcc_twdbase8_2step_dirReg
    .private_segment_fixed_size: 0
    .sgpr_count:     58
    .sgpr_spill_count: 0
    .symbol:         fft_rtc_fwd_len208_factors_2_2_4_13_wgs_247_tpt_13_dim3_sp_ip_CI_sbcc_twdbase8_2step_dirReg.kd
    .uniform_work_group_size: 1
    .uses_dynamic_stack: false
    .vgpr_count:     182
    .vgpr_spill_count: 0
    .wavefront_size: 64
amdhsa.target:   amdgcn-amd-amdhsa--gfx950
amdhsa.version:
  - 1
  - 2
...

	.end_amdgpu_metadata
